;; amdgpu-corpus repo=ROCm/rocFFT kind=compiled arch=gfx950 opt=O3
	.text
	.amdgcn_target "amdgcn-amd-amdhsa--gfx950"
	.amdhsa_code_object_version 6
	.protected	bluestein_single_fwd_len672_dim1_sp_op_CI_CI ; -- Begin function bluestein_single_fwd_len672_dim1_sp_op_CI_CI
	.globl	bluestein_single_fwd_len672_dim1_sp_op_CI_CI
	.p2align	8
	.type	bluestein_single_fwd_len672_dim1_sp_op_CI_CI,@function
bluestein_single_fwd_len672_dim1_sp_op_CI_CI: ; @bluestein_single_fwd_len672_dim1_sp_op_CI_CI
; %bb.0:
	s_load_dwordx4 s[12:15], s[0:1], 0x28
	v_mul_u32_u24_e32 v1, 0x493, v0
	v_mov_b32_e32 v73, 0
	v_add_u32_sdwa v80, s2, v1 dst_sel:DWORD dst_unused:UNUSED_PAD src0_sel:DWORD src1_sel:WORD_1
	v_mov_b32_e32 v81, v73
	s_waitcnt lgkmcnt(0)
	v_cmp_gt_u64_e32 vcc, s[12:13], v[80:81]
	s_and_saveexec_b64 s[2:3], vcc
	s_cbranch_execz .LBB0_12
; %bb.1:
	s_load_dwordx4 s[4:7], s[0:1], 0x18
	s_load_dwordx4 s[8:11], s[0:1], 0x0
	v_mov_b32_e32 v2, s14
	v_mov_b32_e32 v3, s15
	;; [unrolled: 1-line block ×3, first 2 shown]
	s_waitcnt lgkmcnt(0)
	s_load_dwordx4 s[12:15], s[4:5], 0x0
	v_mul_lo_u16_sdwa v1, v1, v4 dst_sel:DWORD dst_unused:UNUSED_PAD src0_sel:WORD_1 src1_sel:DWORD
	v_sub_u16_e32 v72, v0, v1
	v_mov_b32_e32 v26, 0xa80
	v_mov_b32_e32 v24, 0xfffff740
	s_waitcnt lgkmcnt(0)
	v_mad_u64_u32 v[0:1], s[2:3], s14, v80, 0
	v_mov_b32_e32 v4, v1
	v_mad_u64_u32 v[4:5], s[2:3], s15, v80, v[4:5]
	v_mov_b32_e32 v1, v4
	v_mad_u64_u32 v[4:5], s[2:3], s12, v72, 0
	v_mov_b32_e32 v6, v5
	v_mad_u64_u32 v[6:7], s[2:3], s13, v72, v[6:7]
	v_mov_b32_e32 v5, v6
	v_lshl_add_u64 v[0:1], v[0:1], 3, v[2:3]
	v_lshl_add_u64 v[2:3], v[4:5], 3, v[0:1]
	global_load_dwordx2 v[4:5], v[2:3], off
	v_mad_u64_u32 v[2:3], s[2:3], s12, v26, v[2:3]
	s_mul_i32 s4, s13, 0xa80
	v_add_u32_e32 v3, s4, v3
	v_mad_u64_u32 v[8:9], s[2:3], s12, v24, v[2:3]
	s_mul_i32 s2, s13, 0xfffff740
	s_sub_i32 s5, s2, s12
	v_add_u32_e32 v9, s5, v9
	v_mad_u64_u32 v[10:11], s[2:3], s12, v26, v[8:9]
	v_lshlrev_b32_e32 v64, 3, v72
	v_mov_b32_e32 v65, v73
	v_add_u32_e32 v11, s4, v11
	v_lshl_add_u64 v[6:7], s[8:9], 0, v[64:65]
	v_mad_u64_u32 v[12:13], s[2:3], s12, v24, v[10:11]
	v_or_b32_e32 v65, 0x1c0, v72
	global_load_dwordx2 v[92:93], v64, s[8:9]
	global_load_dwordx2 v[84:85], v64, s[8:9] offset:448
	global_load_dwordx2 v[90:91], v64, s[8:9] offset:2688
	;; [unrolled: 1-line block ×3, first 2 shown]
	v_add_u32_e32 v13, s5, v13
	global_load_dwordx2 v[14:15], v[2:3], off
	global_load_dwordx2 v[16:17], v[8:9], off
	;; [unrolled: 1-line block ×4, first 2 shown]
	v_mad_u64_u32 v[2:3], s[2:3], s12, v65, 0
	v_mov_b32_e32 v8, v3
	v_mad_u64_u32 v[8:9], s[2:3], s13, v65, v[8:9]
	v_mov_b32_e32 v3, v8
	v_lshl_add_u64 v[0:1], v[2:3], 3, v[0:1]
	v_mov_b32_e32 v2, 0x1c0
	v_mad_u64_u32 v[2:3], s[2:3], s12, v2, v[12:13]
	s_mul_i32 s2, s13, 0x1c0
	s_nop 0
	v_add_u32_e32 v3, s2, v3
	global_load_dwordx2 v[0:1], v[0:1], off
	s_nop 0
	global_load_dwordx2 v[88:89], v64, s[8:9] offset:896
	global_load_dwordx2 v[8:9], v[2:3], off
	global_load_dwordx2 v[78:79], v64, s[8:9] offset:1344
	global_load_dwordx2 v[86:87], v64, s[8:9] offset:3584
	v_mad_u64_u32 v[2:3], s[2:3], s12, v26, v[2:3]
	v_add_u32_e32 v3, s4, v3
	global_load_dwordx2 v[10:11], v[2:3], off
	global_load_dwordx2 v[76:77], v64, s[8:9] offset:4032
	v_mad_u64_u32 v[2:3], s[2:3], s12, v24, v[2:3]
	v_add_u32_e32 v3, s5, v3
	global_load_dwordx2 v[12:13], v[2:3], off
	global_load_dwordx2 v[74:75], v64, s[8:9] offset:1792
	v_mad_u64_u32 v[2:3], s[2:3], s12, v26, v[2:3]
	s_movk_i32 s2, 0x1000
	s_nop 0
	v_add_co_u32_e32 v6, vcc, s2, v6
	v_add_u32_e32 v3, s4, v3
	s_nop 0
	v_addc_co_u32_e32 v7, vcc, 0, v7, vcc
	global_load_dwordx2 v[22:23], v[2:3], off
	global_load_dwordx2 v[70:71], v[6:7], off offset:384
	v_mad_u64_u32 v[2:3], s[2:3], s12, v24, v[2:3]
	v_add_u32_e32 v3, s5, v3
	global_load_dwordx2 v[24:25], v[2:3], off
	global_load_dwordx2 v[68:69], v64, s[8:9] offset:2240
	v_mad_u64_u32 v[2:3], s[2:3], s12, v26, v[2:3]
	v_add_u32_e32 v3, s4, v3
	global_load_dwordx2 v[26:27], v[2:3], off
	global_load_dwordx2 v[66:67], v[6:7], off offset:832
	s_load_dwordx4 s[4:7], s[6:7], 0x0
	v_lshlrev_b32_e32 v36, 1, v72
	s_movk_i32 s2, 0x7c
	v_add_u32_e32 v109, 0x70, v72
	v_add_u32_e32 v111, 0xa8, v72
	;; [unrolled: 1-line block ×4, first 2 shown]
	s_movk_i32 s3, 0xf0
	s_movk_i32 s12, 0x1f0
	;; [unrolled: 1-line block ×4, first 2 shown]
	v_and_b32_e32 v59, 31, v109
	v_and_b32_e32 v60, 31, v111
	;; [unrolled: 1-line block ×3, first 2 shown]
                                        ; implicit-def: $vgpr131
	s_waitcnt vmcnt(22)
	v_mul_f32_e32 v2, v5, v93
	v_mul_f32_e32 v3, v4, v93
	v_fmac_f32_e32 v2, v4, v92
	v_fma_f32 v3, v5, v92, -v3
	s_waitcnt vmcnt(18)
	v_mul_f32_e32 v4, v15, v91
	v_mul_f32_e32 v5, v14, v91
	v_fmac_f32_e32 v4, v14, v90
	v_fma_f32 v5, v15, v90, -v5
	ds_write_b64 v64, v[4:5] offset:2688
	s_waitcnt vmcnt(17)
	v_mul_f32_e32 v4, v17, v85
	v_mul_f32_e32 v5, v16, v85
	v_fmac_f32_e32 v4, v16, v84
	v_fma_f32 v5, v17, v84, -v5
	ds_write2_b64 v64, v[2:3], v[4:5] offset1:56
	s_waitcnt vmcnt(16)
	v_mul_f32_e32 v2, v19, v83
	s_waitcnt vmcnt(13)
	v_mul_f32_e32 v4, v21, v89
	v_mul_f32_e32 v5, v20, v89
	;; [unrolled: 1-line block ×3, first 2 shown]
	s_waitcnt vmcnt(10)
	v_mul_f32_e32 v6, v1, v87
	v_fmac_f32_e32 v6, v0, v86
	v_mul_f32_e32 v0, v0, v87
	v_fma_f32 v7, v1, v86, -v0
	v_mul_f32_e32 v0, v9, v79
	v_mul_f32_e32 v1, v8, v79
	v_fmac_f32_e32 v4, v20, v88
	v_fma_f32 v5, v21, v88, -v5
	v_fmac_f32_e32 v0, v8, v78
	v_fma_f32 v1, v9, v78, -v1
	;; [unrolled: 2-line block ×3, first 2 shown]
	v_add_u32_e32 v18, 0x800, v64
	ds_write2_b64 v64, v[4:5], v[0:1] offset0:112 offset1:168
	s_waitcnt vmcnt(8)
	v_mul_f32_e32 v0, v11, v77
	v_mul_f32_e32 v1, v10, v77
	ds_write2_b64 v18, v[2:3], v[6:7] offset0:136 offset1:192
	v_fmac_f32_e32 v0, v10, v76
	s_waitcnt vmcnt(4)
	v_mul_f32_e32 v4, v23, v71
	v_mul_f32_e32 v5, v22, v71
	v_fma_f32 v1, v11, v76, -v1
	v_fmac_f32_e32 v4, v22, v70
	v_fma_f32 v5, v23, v70, -v5
	v_add_u32_e32 v6, 0xc00, v64
	v_mul_f32_e32 v2, v13, v75
	v_mul_f32_e32 v3, v12, v75
	ds_write2_b64 v6, v[0:1], v[4:5] offset0:120 offset1:176
	s_waitcnt vmcnt(2)
	v_mul_f32_e32 v0, v25, v69
	v_mul_f32_e32 v1, v24, v69
	v_fmac_f32_e32 v2, v12, v74
	v_fma_f32 v3, v13, v74, -v3
	v_fmac_f32_e32 v0, v24, v68
	v_fma_f32 v1, v25, v68, -v1
	v_add_u32_e32 v19, 0x400, v64
	ds_write2_b64 v19, v[2:3], v[0:1] offset0:96 offset1:152
	s_waitcnt vmcnt(0)
	v_mul_f32_e32 v0, v27, v67
	v_mul_f32_e32 v1, v26, v67
	v_fmac_f32_e32 v0, v26, v66
	v_fma_f32 v1, v27, v66, -v1
	v_lshl_add_u64 v[16:17], v[72:73], 0, 56
	ds_write_b64 v64, v[0:1] offset:4928
	s_waitcnt lgkmcnt(0)
	; wave barrier
	s_waitcnt lgkmcnt(0)
	ds_read2_b64 v[0:3], v64 offset1:56
	ds_read2_b64 v[4:7], v18 offset0:80 offset1:136
	ds_read2_b64 v[12:15], v64 offset0:112 offset1:168
	;; [unrolled: 1-line block ×3, first 2 shown]
	v_add_u32_e32 v17, 0x1000, v64
	ds_read2_b64 v[28:31], v19 offset0:96 offset1:152
	ds_read2_b64 v[32:35], v17 offset0:48 offset1:104
	s_waitcnt lgkmcnt(4)
	v_pk_add_f32 v[10:11], v[0:1], v[4:5] neg_lo:[0,1] neg_hi:[0,1]
	s_waitcnt lgkmcnt(2)
	v_pk_add_f32 v[22:23], v[14:15], v[22:23] neg_lo:[0,1] neg_hi:[0,1]
	v_lshlrev_b32_e32 v73, 4, v72
	v_pk_fma_f32 v[8:9], v[0:1], 2.0, v[10:11] op_sel_hi:[1,0,1] neg_lo:[0,0,1] neg_hi:[0,0,1]
	v_pk_add_f32 v[4:5], v[2:3], v[6:7] neg_lo:[0,1] neg_hi:[0,1]
	v_pk_add_f32 v[26:27], v[12:13], v[20:21] neg_lo:[0,1] neg_hi:[0,1]
	v_pk_fma_f32 v[20:21], v[14:15], 2.0, v[22:23] op_sel_hi:[1,0,1] neg_lo:[0,0,1] neg_hi:[0,0,1]
	s_waitcnt lgkmcnt(0)
	v_pk_add_f32 v[14:15], v[28:29], v[32:33] neg_lo:[0,1] neg_hi:[0,1]
	v_pk_add_f32 v[32:33], v[30:31], v[34:35] neg_lo:[0,1] neg_hi:[0,1]
	v_lshlrev_b32_e32 v81, 4, v16
	v_pk_fma_f32 v[2:3], v[2:3], 2.0, v[4:5] op_sel_hi:[1,0,1] neg_lo:[0,0,1] neg_hi:[0,0,1]
	v_pk_fma_f32 v[24:25], v[12:13], 2.0, v[26:27] op_sel_hi:[1,0,1] neg_lo:[0,0,1] neg_hi:[0,0,1]
	v_lshlrev_b32_e32 v0, 3, v36
	v_pk_fma_f32 v[12:13], v[28:29], 2.0, v[14:15] op_sel_hi:[1,0,1] neg_lo:[0,0,1] neg_hi:[0,0,1]
	v_pk_fma_f32 v[30:31], v[30:31], 2.0, v[32:33] op_sel_hi:[1,0,1] neg_lo:[0,0,1] neg_hi:[0,0,1]
	s_waitcnt lgkmcnt(0)
	; wave barrier
	ds_write_b128 v73, v[8:11]
	ds_write_b128 v81, v[2:5]
	ds_write_b128 v73, v[24:27] offset:1792
	ds_write_b128 v73, v[20:23] offset:2688
	;; [unrolled: 1-line block ×4, first 2 shown]
	v_and_b32_e32 v4, 1, v72
	v_lshlrev_b32_e32 v0, 3, v4
	s_waitcnt lgkmcnt(0)
	; wave barrier
	s_waitcnt lgkmcnt(0)
	global_load_dwordx2 v[94:95], v0, s[10:11]
	v_lshlrev_b32_e32 v32, 1, v16
	v_and_or_b32 v0, v36, s2, v4
	s_movk_i32 s2, 0xfc
	v_lshlrev_b32_e32 v33, 1, v109
	v_lshlrev_b32_e32 v150, 3, v0
	v_and_or_b32 v0, v32, s2, v4
	s_movk_i32 s2, 0x1fc
	v_lshlrev_b32_e32 v34, 1, v111
	v_lshlrev_b32_e32 v151, 3, v0
	v_and_or_b32 v0, v33, s2, v4
	v_lshlrev_b32_e32 v152, 3, v0
	v_and_or_b32 v0, v34, s2, v4
	s_movk_i32 s2, 0x3fc
	v_lshlrev_b32_e32 v153, 3, v0
	v_and_or_b32 v0, v113, s2, v4
	v_lshlrev_b32_e32 v154, 3, v0
	ds_read2_b64 v[0:3], v17 offset0:48 offset1:104
	v_lshlrev_b32_e32 v35, 1, v105
	s_movk_i32 s2, 0x2fc
	v_and_or_b32 v4, v35, s2, v4
	v_lshlrev_b32_e32 v155, 3, v4
	ds_read2_b64 v[4:7], v19 offset0:96 offset1:152
	s_movk_i32 s2, 0x78
	v_and_b32_e32 v58, 31, v16
	s_waitcnt vmcnt(0) lgkmcnt(1)
	v_pk_mul_f32 v[8:9], v[2:3], v[94:95] op_sel:[0,1]
	s_nop 0
	v_pk_fma_f32 v[10:11], v[2:3], v[94:95], v[8:9] op_sel:[0,0,1] op_sel_hi:[1,1,0] neg_lo:[0,0,1] neg_hi:[0,0,1]
	v_pk_fma_f32 v[2:3], v[2:3], v[94:95], v[8:9] op_sel:[0,0,1] op_sel_hi:[1,0,0]
	s_nop 0
	v_mov_b32_e32 v11, v3
	s_waitcnt lgkmcnt(0)
	v_pk_add_f32 v[8:9], v[6:7], v[10:11] neg_lo:[0,1] neg_hi:[0,1]
	v_pk_mul_f32 v[2:3], v[0:1], v[94:95] op_sel:[0,1]
	v_pk_fma_f32 v[10:11], v[6:7], 2.0, v[8:9] op_sel_hi:[1,0,1] neg_lo:[0,0,1] neg_hi:[0,0,1]
	v_pk_fma_f32 v[6:7], v[0:1], v[94:95], v[2:3] op_sel:[0,0,1] op_sel_hi:[1,1,0] neg_lo:[0,0,1] neg_hi:[0,0,1]
	v_pk_fma_f32 v[12:13], v[0:1], v[94:95], v[2:3] op_sel:[0,0,1] op_sel_hi:[1,0,0]
	ds_read2_b64 v[0:3], v18 offset0:192 offset1:248
	v_mov_b32_e32 v7, v13
	v_pk_add_f32 v[12:13], v[4:5], v[6:7] neg_lo:[0,1] neg_hi:[0,1]
	s_waitcnt lgkmcnt(0)
	v_pk_mul_f32 v[20:21], v[2:3], v[94:95] op_sel:[0,1]
	v_pk_fma_f32 v[14:15], v[4:5], 2.0, v[12:13] op_sel_hi:[1,0,1] neg_lo:[0,0,1] neg_hi:[0,0,1]
	ds_read2_b64 v[4:7], v64 offset0:112 offset1:168
	v_pk_fma_f32 v[22:23], v[2:3], v[94:95], v[20:21] op_sel:[0,0,1] op_sel_hi:[1,1,0] neg_lo:[0,0,1] neg_hi:[0,0,1]
	v_pk_fma_f32 v[2:3], v[2:3], v[94:95], v[20:21] op_sel:[0,0,1] op_sel_hi:[1,0,0]
	s_nop 0
	v_mov_b32_e32 v23, v3
	s_waitcnt lgkmcnt(0)
	v_pk_add_f32 v[20:21], v[6:7], v[22:23] neg_lo:[0,1] neg_hi:[0,1]
	v_pk_mul_f32 v[2:3], v[0:1], v[94:95] op_sel:[0,1]
	v_pk_fma_f32 v[22:23], v[6:7], 2.0, v[20:21] op_sel_hi:[1,0,1] neg_lo:[0,0,1] neg_hi:[0,0,1]
	v_pk_fma_f32 v[6:7], v[0:1], v[94:95], v[2:3] op_sel:[0,0,1] op_sel_hi:[1,1,0] neg_lo:[0,0,1] neg_hi:[0,0,1]
	v_pk_fma_f32 v[24:25], v[0:1], v[94:95], v[2:3] op_sel:[0,0,1] op_sel_hi:[1,0,0]
	ds_read2_b64 v[0:3], v18 offset0:80 offset1:136
	v_mov_b32_e32 v7, v25
	v_pk_add_f32 v[24:25], v[4:5], v[6:7] neg_lo:[0,1] neg_hi:[0,1]
	s_waitcnt lgkmcnt(0)
	v_pk_mul_f32 v[28:29], v[2:3], v[94:95] op_sel:[0,1]
	v_pk_fma_f32 v[26:27], v[4:5], 2.0, v[24:25] op_sel_hi:[1,0,1] neg_lo:[0,0,1] neg_hi:[0,0,1]
	ds_read2_b64 v[4:7], v64 offset1:56
	v_pk_fma_f32 v[30:31], v[2:3], v[94:95], v[28:29] op_sel:[0,0,1] op_sel_hi:[1,1,0] neg_lo:[0,0,1] neg_hi:[0,0,1]
	v_pk_fma_f32 v[2:3], v[2:3], v[94:95], v[28:29] op_sel:[0,0,1] op_sel_hi:[1,0,0]
	v_pk_mul_f32 v[28:29], v[0:1], v[94:95] op_sel:[0,1]
	v_mov_b32_e32 v31, v3
	s_waitcnt lgkmcnt(0)
	v_pk_add_f32 v[2:3], v[6:7], v[30:31] neg_lo:[0,1] neg_hi:[0,1]
	v_pk_fma_f32 v[30:31], v[0:1], v[94:95], v[28:29] op_sel:[0,0,1] op_sel_hi:[1,1,0] neg_lo:[0,0,1] neg_hi:[0,0,1]
	v_pk_fma_f32 v[0:1], v[0:1], v[94:95], v[28:29] op_sel:[0,0,1] op_sel_hi:[1,0,0]
	v_pk_fma_f32 v[6:7], v[6:7], 2.0, v[2:3] op_sel_hi:[1,0,1] neg_lo:[0,0,1] neg_hi:[0,0,1]
	v_mov_b32_e32 v31, v1
	v_pk_add_f32 v[0:1], v[4:5], v[30:31] neg_lo:[0,1] neg_hi:[0,1]
	s_nop 0
	v_pk_fma_f32 v[4:5], v[4:5], 2.0, v[0:1] op_sel_hi:[1,0,1] neg_lo:[0,0,1] neg_hi:[0,0,1]
	; wave barrier
	ds_write2_b64 v150, v[4:5], v[0:1] offset1:2
	ds_write2_b64 v151, v[6:7], v[2:3] offset1:2
	;; [unrolled: 1-line block ×6, first 2 shown]
	v_and_b32_e32 v4, 3, v72
	v_lshlrev_b32_e32 v0, 3, v4
	s_waitcnt lgkmcnt(0)
	; wave barrier
	s_waitcnt lgkmcnt(0)
	global_load_dwordx2 v[96:97], v0, s[10:11] offset:16
	v_and_or_b32 v0, v36, s2, v4
	s_movk_i32 s2, 0xf8
	v_lshlrev_b32_e32 v156, 3, v0
	v_and_or_b32 v0, v32, s2, v4
	s_movk_i32 s2, 0x1f8
	v_lshlrev_b32_e32 v157, 3, v0
	v_and_or_b32 v0, v33, s2, v4
	v_lshlrev_b32_e32 v158, 3, v0
	v_and_or_b32 v0, v34, s2, v4
	s_movk_i32 s2, 0x3f8
	v_lshlrev_b32_e32 v159, 3, v0
	v_and_or_b32 v0, v113, s2, v4
	v_lshlrev_b32_e32 v160, 3, v0
	ds_read2_b64 v[0:3], v17 offset0:48 offset1:104
	s_movk_i32 s2, 0x2f8
	v_and_or_b32 v4, v35, s2, v4
	v_lshlrev_b32_e32 v161, 3, v4
	ds_read2_b64 v[4:7], v19 offset0:96 offset1:152
	s_movk_i32 s2, 0x70
	s_waitcnt vmcnt(0) lgkmcnt(1)
	v_pk_mul_f32 v[8:9], v[2:3], v[96:97] op_sel:[0,1]
	s_nop 0
	v_pk_fma_f32 v[10:11], v[2:3], v[96:97], v[8:9] op_sel:[0,0,1] op_sel_hi:[1,1,0] neg_lo:[0,0,1] neg_hi:[0,0,1]
	v_pk_fma_f32 v[2:3], v[2:3], v[96:97], v[8:9] op_sel:[0,0,1] op_sel_hi:[1,0,0]
	s_nop 0
	v_mov_b32_e32 v11, v3
	s_waitcnt lgkmcnt(0)
	v_pk_add_f32 v[8:9], v[6:7], v[10:11] neg_lo:[0,1] neg_hi:[0,1]
	v_pk_mul_f32 v[2:3], v[0:1], v[96:97] op_sel:[0,1]
	v_pk_fma_f32 v[10:11], v[6:7], 2.0, v[8:9] op_sel_hi:[1,0,1] neg_lo:[0,0,1] neg_hi:[0,0,1]
	v_pk_fma_f32 v[6:7], v[0:1], v[96:97], v[2:3] op_sel:[0,0,1] op_sel_hi:[1,1,0] neg_lo:[0,0,1] neg_hi:[0,0,1]
	v_pk_fma_f32 v[12:13], v[0:1], v[96:97], v[2:3] op_sel:[0,0,1] op_sel_hi:[1,0,0]
	ds_read2_b64 v[0:3], v18 offset0:192 offset1:248
	v_mov_b32_e32 v7, v13
	v_pk_add_f32 v[12:13], v[4:5], v[6:7] neg_lo:[0,1] neg_hi:[0,1]
	s_waitcnt lgkmcnt(0)
	v_pk_mul_f32 v[20:21], v[2:3], v[96:97] op_sel:[0,1]
	v_pk_fma_f32 v[14:15], v[4:5], 2.0, v[12:13] op_sel_hi:[1,0,1] neg_lo:[0,0,1] neg_hi:[0,0,1]
	ds_read2_b64 v[4:7], v64 offset0:112 offset1:168
	v_pk_fma_f32 v[22:23], v[2:3], v[96:97], v[20:21] op_sel:[0,0,1] op_sel_hi:[1,1,0] neg_lo:[0,0,1] neg_hi:[0,0,1]
	v_pk_fma_f32 v[2:3], v[2:3], v[96:97], v[20:21] op_sel:[0,0,1] op_sel_hi:[1,0,0]
	s_nop 0
	v_mov_b32_e32 v23, v3
	s_waitcnt lgkmcnt(0)
	v_pk_add_f32 v[20:21], v[6:7], v[22:23] neg_lo:[0,1] neg_hi:[0,1]
	v_pk_mul_f32 v[2:3], v[0:1], v[96:97] op_sel:[0,1]
	v_pk_fma_f32 v[22:23], v[6:7], 2.0, v[20:21] op_sel_hi:[1,0,1] neg_lo:[0,0,1] neg_hi:[0,0,1]
	v_pk_fma_f32 v[6:7], v[0:1], v[96:97], v[2:3] op_sel:[0,0,1] op_sel_hi:[1,1,0] neg_lo:[0,0,1] neg_hi:[0,0,1]
	v_pk_fma_f32 v[24:25], v[0:1], v[96:97], v[2:3] op_sel:[0,0,1] op_sel_hi:[1,0,0]
	ds_read2_b64 v[0:3], v18 offset0:80 offset1:136
	v_mov_b32_e32 v7, v25
	v_pk_add_f32 v[24:25], v[4:5], v[6:7] neg_lo:[0,1] neg_hi:[0,1]
	s_waitcnt lgkmcnt(0)
	v_pk_mul_f32 v[28:29], v[2:3], v[96:97] op_sel:[0,1]
	v_pk_fma_f32 v[26:27], v[4:5], 2.0, v[24:25] op_sel_hi:[1,0,1] neg_lo:[0,0,1] neg_hi:[0,0,1]
	ds_read2_b64 v[4:7], v64 offset1:56
	v_pk_fma_f32 v[30:31], v[2:3], v[96:97], v[28:29] op_sel:[0,0,1] op_sel_hi:[1,1,0] neg_lo:[0,0,1] neg_hi:[0,0,1]
	v_pk_fma_f32 v[2:3], v[2:3], v[96:97], v[28:29] op_sel:[0,0,1] op_sel_hi:[1,0,0]
	v_pk_mul_f32 v[28:29], v[0:1], v[96:97] op_sel:[0,1]
	v_mov_b32_e32 v31, v3
	s_waitcnt lgkmcnt(0)
	v_pk_add_f32 v[2:3], v[6:7], v[30:31] neg_lo:[0,1] neg_hi:[0,1]
	v_pk_fma_f32 v[30:31], v[0:1], v[96:97], v[28:29] op_sel:[0,0,1] op_sel_hi:[1,1,0] neg_lo:[0,0,1] neg_hi:[0,0,1]
	v_pk_fma_f32 v[0:1], v[0:1], v[96:97], v[28:29] op_sel:[0,0,1] op_sel_hi:[1,0,0]
	v_pk_fma_f32 v[6:7], v[6:7], 2.0, v[2:3] op_sel_hi:[1,0,1] neg_lo:[0,0,1] neg_hi:[0,0,1]
	v_mov_b32_e32 v31, v1
	v_pk_add_f32 v[0:1], v[4:5], v[30:31] neg_lo:[0,1] neg_hi:[0,1]
	s_nop 0
	v_pk_fma_f32 v[4:5], v[4:5], 2.0, v[0:1] op_sel_hi:[1,0,1] neg_lo:[0,0,1] neg_hi:[0,0,1]
	; wave barrier
	ds_write2_b64 v156, v[4:5], v[0:1] offset1:4
	ds_write2_b64 v157, v[6:7], v[2:3] offset1:4
	;; [unrolled: 1-line block ×6, first 2 shown]
	v_and_b32_e32 v0, 7, v72
	v_lshlrev_b32_e32 v1, 3, v0
	s_waitcnt lgkmcnt(0)
	; wave barrier
	s_waitcnt lgkmcnt(0)
	global_load_dwordx2 v[98:99], v1, s[10:11] offset:48
	v_and_or_b32 v1, v36, s2, v0
	v_lshlrev_b32_e32 v162, 3, v1
	v_and_or_b32 v1, v32, s3, v0
	v_and_or_b32 v2, v33, s12, v0
	;; [unrolled: 1-line block ×5, first 2 shown]
	v_lshlrev_b32_e32 v163, 3, v1
	v_lshlrev_b32_e32 v164, 3, v2
	;; [unrolled: 1-line block ×3, first 2 shown]
	ds_read2_b64 v[0:3], v17 offset0:48 offset1:104
	v_lshlrev_b32_e32 v166, 3, v4
	v_lshlrev_b32_e32 v167, 3, v5
	ds_read2_b64 v[4:7], v19 offset0:96 offset1:152
	ds_read2_b64 v[8:11], v18 offset0:192 offset1:248
	s_movk_i32 s2, 0x60
	s_movk_i32 s3, 0xe0
	;; [unrolled: 1-line block ×5, first 2 shown]
	s_waitcnt vmcnt(0) lgkmcnt(2)
	v_pk_mul_f32 v[12:13], v[2:3], v[98:99] op_sel:[0,1]
	v_pk_mul_f32 v[14:15], v[0:1], v[98:99] op_sel:[0,1]
	v_pk_fma_f32 v[20:21], v[2:3], v[98:99], v[12:13] op_sel:[0,0,1] op_sel_hi:[1,1,0] neg_lo:[0,0,1] neg_hi:[0,0,1]
	v_pk_fma_f32 v[2:3], v[2:3], v[98:99], v[12:13] op_sel:[0,0,1] op_sel_hi:[1,0,0]
	v_pk_fma_f32 v[12:13], v[0:1], v[98:99], v[14:15] op_sel:[0,0,1] op_sel_hi:[1,1,0] neg_lo:[0,0,1] neg_hi:[0,0,1]
	v_pk_fma_f32 v[0:1], v[0:1], v[98:99], v[14:15] op_sel:[0,0,1] op_sel_hi:[1,0,0]
	v_mov_b32_e32 v21, v3
	v_mov_b32_e32 v13, v1
	ds_read2_b64 v[0:3], v64 offset0:112 offset1:168
	s_waitcnt lgkmcnt(2)
	v_pk_add_f32 v[12:13], v[4:5], v[12:13] neg_lo:[0,1] neg_hi:[0,1]
	v_pk_add_f32 v[14:15], v[6:7], v[20:21] neg_lo:[0,1] neg_hi:[0,1]
	v_pk_fma_f32 v[22:23], v[4:5], 2.0, v[12:13] op_sel_hi:[1,0,1] neg_lo:[0,0,1] neg_hi:[0,0,1]
	s_waitcnt lgkmcnt(1)
	v_pk_mul_f32 v[4:5], v[10:11], v[98:99] op_sel:[0,1]
	v_pk_fma_f32 v[20:21], v[6:7], 2.0, v[14:15] op_sel_hi:[1,0,1] neg_lo:[0,0,1] neg_hi:[0,0,1]
	v_pk_fma_f32 v[6:7], v[10:11], v[98:99], v[4:5] op_sel:[0,0,1] op_sel_hi:[1,1,0] neg_lo:[0,0,1] neg_hi:[0,0,1]
	v_pk_fma_f32 v[4:5], v[10:11], v[98:99], v[4:5] op_sel:[0,0,1] op_sel_hi:[1,0,0]
	s_nop 0
	v_mov_b32_e32 v7, v5
	s_waitcnt lgkmcnt(0)
	v_pk_add_f32 v[10:11], v[2:3], v[6:7] neg_lo:[0,1] neg_hi:[0,1]
	s_nop 0
	v_pk_fma_f32 v[24:25], v[2:3], 2.0, v[10:11] op_sel_hi:[1,0,1] neg_lo:[0,0,1] neg_hi:[0,0,1]
	v_pk_mul_f32 v[2:3], v[8:9], v[98:99] op_sel:[0,1]
	s_nop 0
	v_pk_fma_f32 v[6:7], v[8:9], v[98:99], v[2:3] op_sel:[0,0,1] op_sel_hi:[1,1,0] neg_lo:[0,0,1] neg_hi:[0,0,1]
	v_pk_fma_f32 v[8:9], v[8:9], v[98:99], v[2:3] op_sel:[0,0,1] op_sel_hi:[1,0,0]
	ds_read2_b64 v[2:5], v18 offset0:80 offset1:136
	v_mov_b32_e32 v7, v9
	v_pk_add_f32 v[26:27], v[0:1], v[6:7] neg_lo:[0,1] neg_hi:[0,1]
	ds_read2_b64 v[6:9], v64 offset1:56
	v_pk_fma_f32 v[0:1], v[0:1], 2.0, v[26:27] op_sel_hi:[1,0,1] neg_lo:[0,0,1] neg_hi:[0,0,1]
	s_waitcnt lgkmcnt(1)
	v_pk_mul_f32 v[28:29], v[4:5], v[98:99] op_sel:[0,1]
	s_waitcnt lgkmcnt(0)
	v_pk_fma_f32 v[30:31], v[4:5], v[98:99], v[28:29] op_sel:[0,0,1] op_sel_hi:[1,1,0] neg_lo:[0,0,1] neg_hi:[0,0,1]
	v_pk_fma_f32 v[4:5], v[4:5], v[98:99], v[28:29] op_sel:[0,0,1] op_sel_hi:[1,0,0]
	v_pk_mul_f32 v[28:29], v[2:3], v[98:99] op_sel:[0,1]
	v_mov_b32_e32 v31, v5
	v_pk_add_f32 v[4:5], v[8:9], v[30:31] neg_lo:[0,1] neg_hi:[0,1]
	v_pk_fma_f32 v[30:31], v[2:3], v[98:99], v[28:29] op_sel:[0,0,1] op_sel_hi:[1,1,0] neg_lo:[0,0,1] neg_hi:[0,0,1]
	v_pk_fma_f32 v[2:3], v[2:3], v[98:99], v[28:29] op_sel:[0,0,1] op_sel_hi:[1,0,0]
	v_pk_fma_f32 v[8:9], v[8:9], 2.0, v[4:5] op_sel_hi:[1,0,1] neg_lo:[0,0,1] neg_hi:[0,0,1]
	v_mov_b32_e32 v31, v3
	v_pk_add_f32 v[2:3], v[6:7], v[30:31] neg_lo:[0,1] neg_hi:[0,1]
	; wave barrier
	s_nop 0
	v_pk_fma_f32 v[6:7], v[6:7], 2.0, v[2:3] op_sel_hi:[1,0,1] neg_lo:[0,0,1] neg_hi:[0,0,1]
	ds_write2_b64 v162, v[6:7], v[2:3] offset1:8
	ds_write2_b64 v163, v[8:9], v[4:5] offset1:8
	;; [unrolled: 1-line block ×6, first 2 shown]
	v_and_b32_e32 v4, 15, v111
	v_and_b32_e32 v0, 15, v72
	;; [unrolled: 1-line block ×3, first 2 shown]
	v_lshlrev_b32_e32 v5, 3, v4
	s_waitcnt lgkmcnt(0)
	; wave barrier
	s_waitcnt lgkmcnt(0)
	v_lshlrev_b32_e32 v1, 3, v0
	v_lshlrev_b32_e32 v3, 3, v2
	global_load_dwordx2 v[106:107], v5, s[10:11] offset:112
	global_load_dword v108, v3, s[10:11] offset:116
	global_load_dwordx2 v[100:101], v1, s[10:11] offset:112
	global_load_dwordx2 v[102:103], v3, s[10:11] offset:112
	v_and_b32_e32 v1, 15, v16
	v_lshlrev_b32_e32 v3, 3, v1
	global_load_dword v104, v3, s[10:11] offset:112
	v_and_or_b32 v3, v36, s2, v0
	v_lshlrev_b32_e32 v168, 3, v3
	v_and_or_b32 v1, v32, s3, v1
	v_and_or_b32 v3, v33, s12, v0
	;; [unrolled: 1-line block ×5, first 2 shown]
	v_lshlrev_b32_e32 v169, 3, v1
	v_lshlrev_b32_e32 v170, 3, v3
	;; [unrolled: 1-line block ×5, first 2 shown]
	ds_read2_b64 v[0:3], v17 offset0:48 offset1:104
	ds_read2_b64 v[4:7], v19 offset0:96 offset1:152
	;; [unrolled: 1-line block ×4, first 2 shown]
	s_mov_b32 s2, 0x3f5db3d7
	s_load_dwordx2 s[12:13], s[0:1], 0x38
	v_cmp_gt_u16_e64 s[0:1], 40, v72
	s_waitcnt vmcnt(4)
	v_mov_b32_e32 v110, v107
	s_waitcnt vmcnt(3) lgkmcnt(0)
	v_pk_mul_f32 v[20:21], v[2:3], v[108:109] op_sel_hi:[1,0]
	s_waitcnt vmcnt(2)
	v_pk_mul_f32 v[22:23], v[0:1], v[100:101] op_sel:[0,1]
	s_waitcnt vmcnt(1)
	v_pk_fma_f32 v[24:25], v[2:3], v[102:103], v[20:21] op_sel:[0,0,1] op_sel_hi:[1,1,0] neg_lo:[0,0,1] neg_hi:[0,0,1]
	v_pk_fma_f32 v[2:3], v[2:3], v[102:103], v[20:21] op_sel:[0,0,1] op_sel_hi:[1,0,0]
	v_pk_fma_f32 v[20:21], v[0:1], v[100:101], v[22:23] op_sel:[0,0,1] op_sel_hi:[1,1,0] neg_lo:[0,0,1] neg_hi:[0,0,1]
	v_pk_fma_f32 v[0:1], v[0:1], v[100:101], v[22:23] op_sel:[0,0,1] op_sel_hi:[1,0,0]
	v_mov_b32_e32 v25, v3
	v_mov_b32_e32 v21, v1
	v_pk_mul_f32 v[0:1], v[14:15], v[110:111] op_sel_hi:[1,0]
	v_pk_add_f32 v[22:23], v[6:7], v[24:25] neg_lo:[0,1] neg_hi:[0,1]
	v_pk_fma_f32 v[2:3], v[14:15], v[106:107], v[0:1] op_sel:[0,0,1] op_sel_hi:[1,1,0] neg_lo:[0,0,1] neg_hi:[0,0,1]
	v_pk_fma_f32 v[0:1], v[14:15], v[106:107], v[0:1] op_sel:[0,0,1] op_sel_hi:[1,0,0]
	v_pk_add_f32 v[20:21], v[4:5], v[20:21] neg_lo:[0,1] neg_hi:[0,1]
	v_mov_b32_e32 v3, v1
	v_pk_mul_f32 v[0:1], v[12:13], v[100:101] op_sel:[0,1]
	v_pk_fma_f32 v[24:25], v[6:7], 2.0, v[22:23] op_sel_hi:[1,0,1] neg_lo:[0,0,1] neg_hi:[0,0,1]
	v_pk_fma_f32 v[26:27], v[4:5], 2.0, v[20:21] op_sel_hi:[1,0,1] neg_lo:[0,0,1] neg_hi:[0,0,1]
	v_pk_add_f32 v[14:15], v[10:11], v[2:3] neg_lo:[0,1] neg_hi:[0,1]
	v_pk_fma_f32 v[4:5], v[12:13], v[100:101], v[0:1] op_sel:[0,0,1] op_sel_hi:[1,1,0] neg_lo:[0,0,1] neg_hi:[0,0,1]
	v_pk_fma_f32 v[6:7], v[12:13], v[100:101], v[0:1] op_sel:[0,0,1] op_sel_hi:[1,0,0]
	ds_read2_b64 v[0:3], v18 offset0:80 offset1:136
	v_mov_b32_e32 v5, v7
	v_pk_add_f32 v[12:13], v[8:9], v[4:5] neg_lo:[0,1] neg_hi:[0,1]
	ds_read2_b64 v[4:7], v64 offset1:56
	v_pk_fma_f32 v[10:11], v[10:11], 2.0, v[14:15] op_sel_hi:[1,0,1] neg_lo:[0,0,1] neg_hi:[0,0,1]
	s_waitcnt lgkmcnt(1)
	v_pk_mul_f32 v[28:29], v[2:3], v[102:103] op_sel:[0,1]
	v_pk_fma_f32 v[8:9], v[8:9], 2.0, v[12:13] op_sel_hi:[1,0,1] neg_lo:[0,0,1] neg_hi:[0,0,1]
	s_waitcnt vmcnt(0)
	v_pk_fma_f32 v[30:31], v[2:3], v[104:105], v[28:29] op_sel:[0,0,1] op_sel_hi:[1,1,0] neg_lo:[0,0,1] neg_hi:[0,0,1]
	v_pk_fma_f32 v[2:3], v[2:3], v[104:105], v[28:29] op_sel:[0,0,1] op_sel_hi:[1,0,0]
	v_pk_mul_f32 v[28:29], v[0:1], v[100:101] op_sel:[0,1]
	v_mov_b32_e32 v31, v3
	s_waitcnt lgkmcnt(0)
	v_pk_add_f32 v[2:3], v[6:7], v[30:31] neg_lo:[0,1] neg_hi:[0,1]
	v_pk_fma_f32 v[30:31], v[0:1], v[100:101], v[28:29] op_sel:[0,0,1] op_sel_hi:[1,1,0] neg_lo:[0,0,1] neg_hi:[0,0,1]
	v_pk_fma_f32 v[0:1], v[0:1], v[100:101], v[28:29] op_sel:[0,0,1] op_sel_hi:[1,0,0]
	v_pk_fma_f32 v[6:7], v[6:7], 2.0, v[2:3] op_sel_hi:[1,0,1] neg_lo:[0,0,1] neg_hi:[0,0,1]
	v_mov_b32_e32 v31, v1
	v_pk_add_f32 v[0:1], v[4:5], v[30:31] neg_lo:[0,1] neg_hi:[0,1]
	s_nop 0
	v_pk_fma_f32 v[4:5], v[4:5], 2.0, v[0:1] op_sel_hi:[1,0,1] neg_lo:[0,0,1] neg_hi:[0,0,1]
	; wave barrier
	ds_write2_b64 v168, v[4:5], v[0:1] offset1:16
	ds_write2_b64 v169, v[6:7], v[2:3] offset1:16
	;; [unrolled: 1-line block ×6, first 2 shown]
	v_lshlrev_b32_e32 v0, 4, v58
	v_lshlrev_b32_e32 v4, 4, v59
	s_waitcnt lgkmcnt(0)
	; wave barrier
	s_waitcnt lgkmcnt(0)
	global_load_dwordx4 v[0:3], v0, s[10:11] offset:240
	v_lshlrev_b32_e32 v5, 4, v60
	global_load_dwordx4 v[12:15], v4, s[10:11] offset:240
	global_load_dwordx4 v[8:11], v5, s[10:11] offset:240
	v_lshlrev_b32_e32 v4, 4, v61
	global_load_dwordx4 v[4:7], v4, s[10:11] offset:240
	ds_read2_b64 v[20:23], v18 offset0:80 offset1:136
	ds_read2_b64 v[24:27], v19 offset0:96 offset1:152
	;; [unrolled: 1-line block ×4, first 2 shown]
	ds_read2_b64 v[36:39], v64 offset1:56
	s_waitcnt vmcnt(3)
	v_mov_b32_e32 v116, v0
	s_waitcnt vmcnt(2)
	v_mov_b32_e32 v120, v12
	s_waitcnt vmcnt(1) lgkmcnt(4)
	v_pk_mul_f32 v[40:41], v[22:23], v[8:9] op_sel:[0,1]
	v_pk_mul_f32 v[42:43], v[20:21], v[12:13] op_sel:[0,1]
	s_waitcnt lgkmcnt(3)
	v_pk_mul_f32 v[44:45], v[26:27], v[0:1] op_sel:[0,1]
	s_waitcnt vmcnt(0)
	v_mov_b32_e32 v112, v4
	v_pk_mul_f32 v[46:47], v[24:25], v[4:5] op_sel:[0,1]
	v_mov_b32_e32 v48, v11
	v_mov_b32_e32 v122, v15
	v_mov_b32_e32 v118, v3
	v_mov_b32_e32 v114, v7
	v_pk_fma_f32 v[50:51], v[22:23], v[8:9], v[40:41] op_sel:[0,0,1] op_sel_hi:[1,1,0] neg_lo:[0,0,1] neg_hi:[0,0,1]
	v_pk_fma_f32 v[40:41], v[22:23], v[8:9], v[40:41] op_sel:[0,0,1] op_sel_hi:[1,0,0]
	v_pk_fma_f32 v[52:53], v[20:21], v[120:121], v[42:43] op_sel:[0,0,1] op_sel_hi:[1,1,0] neg_lo:[0,0,1] neg_hi:[0,0,1]
	v_pk_fma_f32 v[42:43], v[20:21], v[12:13], v[42:43] op_sel:[0,0,1] op_sel_hi:[1,0,0]
	;; [unrolled: 2-line block ×4, first 2 shown]
	s_waitcnt lgkmcnt(2)
	v_pk_mul_f32 v[24:25], v[30:31], v[48:49] op_sel_hi:[1,0]
	v_pk_mul_f32 v[44:45], v[28:29], v[122:123] op_sel_hi:[1,0]
	s_waitcnt lgkmcnt(1)
	v_pk_mul_f32 v[46:47], v[34:35], v[118:119] op_sel_hi:[1,0]
	v_pk_mul_f32 v[48:49], v[32:33], v[114:115] op_sel_hi:[1,0]
	v_pk_fma_f32 v[56:57], v[30:31], v[10:11], v[24:25] op_sel:[0,0,1] op_sel_hi:[1,1,0] neg_lo:[0,0,1] neg_hi:[0,0,1]
	v_pk_fma_f32 v[24:25], v[30:31], v[10:11], v[24:25] op_sel:[0,0,1] op_sel_hi:[1,0,0]
	v_pk_fma_f32 v[30:31], v[28:29], v[14:15], v[44:45] op_sel:[0,0,1] op_sel_hi:[1,1,0] neg_lo:[0,0,1] neg_hi:[0,0,1]
	v_pk_fma_f32 v[28:29], v[28:29], v[14:15], v[44:45] op_sel:[0,0,1] op_sel_hi:[1,0,0]
	;; [unrolled: 2-line block ×4, first 2 shown]
	v_mov_b32_e32 v21, v23
	v_mov_b32_e32 v47, v33
	s_waitcnt lgkmcnt(0)
	v_pk_add_f32 v[22:23], v[36:37], v[20:21]
	v_lshrrev_b32_e32 v0, 5, v72
	v_pk_add_f32 v[32:33], v[22:23], v[46:47]
	v_pk_add_f32 v[22:23], v[20:21], v[46:47]
	v_pk_add_f32 v[20:21], v[20:21], v[46:47] neg_lo:[0,1] neg_hi:[0,1]
	v_pk_fma_f32 v[22:23], v[22:23], 0.5, v[36:37] op_sel_hi:[1,0,1] neg_lo:[1,0,0] neg_hi:[1,0,0]
	v_pk_mul_f32 v[20:21], v[20:21], s[2:3] op_sel_hi:[1,0]
	v_mul_u32_u24_e32 v0, 0x60, v0
	v_pk_add_f32 v[36:37], v[22:23], v[20:21] op_sel:[0,1] op_sel_hi:[1,0]
	v_pk_add_f32 v[46:47], v[22:23], v[20:21] op_sel:[0,1] op_sel_hi:[1,0] neg_lo:[0,1] neg_hi:[0,1]
	v_or_b32_e32 v0, v0, v61
	ds_read2_b64 v[20:23], v64 offset0:112 offset1:168
	v_mov_b32_e32 v55, v27
	v_mov_b32_e32 v45, v35
	v_lshlrev_b32_e32 v174, 3, v0
	v_pk_add_f32 v[26:27], v[54:55], v[44:45]
	v_pk_add_f32 v[34:35], v[54:55], v[44:45] neg_lo:[0,1] neg_hi:[0,1]
	v_lshrrev_b32_e32 v0, 5, v16
	v_mov_b32_e32 v48, v36
	v_mov_b32_e32 v49, v47
	v_pk_fma_f32 v[26:27], v[26:27], 0.5, v[38:39] op_sel_hi:[1,0,1] neg_lo:[1,0,0] neg_hi:[1,0,0]
	v_pk_mul_f32 v[34:35], v[34:35], s[2:3] op_sel_hi:[1,0]
	v_mul_u32_u24_e32 v0, 0x60, v0
	s_waitcnt lgkmcnt(0)
	; wave barrier
	s_waitcnt lgkmcnt(0)
	ds_write2_b64 v174, v[32:33], v[48:49] offset1:32
	v_pk_add_f32 v[32:33], v[38:39], v[54:55]
	v_mov_b32_e32 v47, v37
	v_pk_add_f32 v[36:37], v[26:27], v[34:35] op_sel:[0,1] op_sel_hi:[1,0]
	v_pk_add_f32 v[26:27], v[26:27], v[34:35] op_sel:[0,1] op_sel_hi:[1,0] neg_lo:[0,1] neg_hi:[0,1]
	v_or_b32_e32 v0, v0, v58
	v_pk_add_f32 v[32:33], v[32:33], v[44:45]
	v_lshlrev_b32_e32 v175, 3, v0
	v_mov_b32_e32 v34, v36
	v_mov_b32_e32 v35, v27
	;; [unrolled: 1-line block ×4, first 2 shown]
	ds_write_b64 v174, v[46:47] offset:512
	ds_write2_b64 v175, v[32:33], v[34:35] offset1:32
	v_mov_b32_e32 v40, v43
	v_mov_b32_e32 v31, v29
	;; [unrolled: 1-line block ×5, first 2 shown]
	v_pk_add_f32 v[32:33], v[22:23], v[50:51]
	v_mov_b32_e32 v22, v21
	v_pk_add_f32 v[20:21], v[20:21], v[52:53]
	v_pk_add_f32 v[34:35], v[40:41], v[24:25]
	v_mov_b32_e32 v53, v50
	v_pk_add_f32 v[20:21], v[20:21], v[30:31]
	v_mov_b32_e32 v31, v56
	v_pk_fma_f32 v[22:23], v[34:35], 0.5, v[22:23] op_sel_hi:[1,0,1] neg_lo:[1,0,0] neg_hi:[1,0,0]
	v_pk_add_f32 v[34:35], v[52:53], v[30:31]
	v_pk_add_f32 v[30:31], v[52:53], v[30:31] neg_lo:[0,1] neg_hi:[0,1]
	v_mov_b32_e32 v27, v37
	v_pk_fma_f32 v[28:29], v[34:35], 0.5, v[28:29] op_sel_hi:[1,0,1] neg_lo:[1,0,0] neg_hi:[1,0,0]
	ds_write_b64 v175, v[26:27] offset:512
	v_pk_mul_f32 v[26:27], v[30:31], s[2:3] op_sel_hi:[1,0]
	v_lshrrev_b32_e32 v0, 5, v109
	v_mov_b32_e32 v57, v25
	v_pk_add_f32 v[24:25], v[40:41], v[24:25] neg_lo:[0,1] neg_hi:[0,1]
	v_mov_b32_e32 v34, v28
	v_mov_b32_e32 v35, v26
	;; [unrolled: 1-line block ×3, first 2 shown]
	v_mul_u32_u24_e32 v0, 0x60, v0
	v_pk_add_f32 v[34:35], v[2:3], v[34:35] neg_lo:[0,1] neg_hi:[0,1]
	v_pk_fma_f32 v[40:41], v[24:25], s[2:3], v[28:29] op_sel_hi:[1,0,1]
	v_or_b32_e32 v0, v0, v59
	v_mov_b32_e32 v41, v35
	v_lshlrev_b32_e32 v176, 3, v0
	v_pk_fma_f32 v[128:129], v[24:25], s[2:3], v[28:29] op_sel_hi:[1,0,1] neg_lo:[1,0,0] neg_hi:[1,0,0]
	v_pk_fma_f32 v[48:49], v[30:31], s[2:3], v[22:23] op_sel_hi:[1,0,1]
	ds_write2_b64 v176, v[20:21], v[40:41] offset1:32
	v_mov_b32_e32 v20, v128
	v_mov_b32_e32 v21, v48
	ds_write_b64 v176, v[20:21] offset:512
	v_pk_mul_f32 v[20:21], v[24:25], s[2:3] op_sel_hi:[1,0]
	v_lshrrev_b32_e32 v0, 5, v111
	v_mov_b32_e32 v26, v29
	v_mov_b32_e32 v20, v21
	;; [unrolled: 1-line block ×3, first 2 shown]
	v_mul_u32_u24_e32 v0, 0x60, v0
	v_pk_add_f32 v[42:43], v[20:21], v[26:27]
	v_pk_fma_f32 v[20:21], v[30:31], s[2:3], v[22:23] op_sel_hi:[1,0,1] neg_lo:[1,0,0] neg_hi:[1,0,0]
	v_or_b32_e32 v0, v0, v60
	v_mov_b32_e32 v43, v21
	v_lshlrev_b32_e32 v177, 3, v0
	v_mov_b32_e32 v20, v129
	v_mov_b32_e32 v21, v49
	v_pk_add_f32 v[52:53], v[32:33], v[56:57]
	ds_write_b64 v177, v[20:21] offset:512
	ds_write2_b64 v177, v[52:53], v[42:43] offset1:32
	s_waitcnt lgkmcnt(0)
	; wave barrier
	s_waitcnt lgkmcnt(0)
	ds_read_b64 v[132:133], v64 offset:4608
	ds_read2_b64 v[60:63], v19 offset0:64 offset1:160
	ds_read2_b64 v[56:59], v18 offset0:128 offset1:224
	ds_read2_b64 v[44:47], v64 offset1:96
	v_cmp_lt_u16_e64 s[2:3], 39, v72
	s_and_saveexec_b64 s[14:15], s[2:3]
	s_xor_b64 s[14:15], exec, s[14:15]
; %bb.2:
	v_mov_b32_e32 v131, v42
; %bb.3:
	s_or_saveexec_b64 s[14:15], s[14:15]
                                        ; implicit-def: $vgpr0
	s_xor_b64 exec, exec, s[14:15]
	s_cbranch_execz .LBB0_5
; %bb.4:
	v_add_u32_e32 v0, 0xc00, v64
	ds_read2_b64 v[40:43], v64 offset0:56 offset1:152
	ds_read2_b64 v[48:51], v0 offset0:56 offset1:152
	v_add_u32_e32 v0, 0x400, v64
	ds_read_b64 v[130:131], v64 offset:5056
	ds_read2_b64 v[52:55], v0 offset0:120 offset1:216
	s_waitcnt lgkmcnt(3)
	v_mov_b32_e32 v128, v42
	s_waitcnt lgkmcnt(2)
	v_mov_b32_e32 v129, v48
	v_mov_b32_e32 v48, v43
	s_waitcnt lgkmcnt(1)
	v_mov_b32_e32 v42, v131
	s_waitcnt lgkmcnt(0)
	v_mov_b32_e32 v43, v55
	v_mov_b32_e32 v131, v54
	;; [unrolled: 1-line block ×3, first 2 shown]
.LBB0_5:
	s_or_b64 exec, exec, s[14:15]
	v_subrev_u32_e32 v3, 40, v72
	v_mad_u64_u32 v[18:19], s[14:15], v72, 48, s[10:11]
	v_cndmask_b32_e64 v3, v3, v16, s[0:1]
	global_load_dwordx4 v[28:31], v[18:19], off offset:768
	global_load_dwordx4 v[32:35], v[18:19], off offset:784
	;; [unrolled: 1-line block ×3, first 2 shown]
	v_mul_hi_i32_i24_e32 v17, 48, v3
	v_mul_i32_i24_e32 v16, 48, v3
	v_lshl_add_u64 v[20:21], s[10:11], 0, v[16:17]
	global_load_dwordx4 v[16:19], v[20:21], off offset:752
	global_load_dwordx4 v[24:27], v[20:21], off offset:768
	s_nop 0
	global_load_dwordx4 v[20:23], v[20:21], off offset:784
	s_waitcnt lgkmcnt(1)
	v_mov_b32_e32 v136, v57
	v_mov_b32_e32 v137, v59
	;; [unrolled: 1-line block ×16, first 2 shown]
	s_waitcnt lgkmcnt(0)
	v_mov_b32_e32 v148, v46
	s_mov_b32 s14, 0x3eae86e6
	s_mov_b32 s15, 0xbf08b237
	;; [unrolled: 1-line block ×10, first 2 shown]
	v_mov_b32_e32 v107, v106
	v_mov_b32_e32 v121, v120
	v_mov_b32_e32 v12, v13
	v_mov_b32_e32 v15, v14
	v_mov_b32_e32 v123, v122
	v_mov_b32_e32 v117, v116
	v_mov_b32_e32 v119, v118
	v_mov_b32_e32 v7, v6
	v_mov_b32_e32 v115, v114
	s_waitcnt vmcnt(5)
	v_mov_b32_e32 v54, v31
	s_waitcnt vmcnt(4)
	v_mov_b32_e32 v55, v32
	v_mul_f32_e32 v3, v59, v33
	v_mov_b32_e32 v126, v29
	s_waitcnt vmcnt(3)
	v_mov_b32_e32 v127, v39
	v_mov_b32_e32 v59, v38
	v_mul_f32_e32 v4, v61, v39
	v_pk_mul_f32 v[136:137], v[136:137], v[54:55]
	v_fma_f32 v61, v58, v32, -v3
	v_mov_b32_e32 v58, v28
	v_pk_mul_f32 v[146:147], v[146:147], v[126:127]
	v_mov_b32_e32 v180, v35
	v_mov_b32_e32 v181, v30
	v_pk_fma_f32 v[184:185], v[56:57], v[30:31], v[136:137] neg_lo:[0,0,1] neg_hi:[0,0,1]
	v_mov_b32_e32 v56, v133
	v_pk_fma_f32 v[144:145], v[144:145], v[58:59], v[146:147]
	v_pk_fma_f32 v[58:59], v[62:63], v[58:59], v[146:147] neg_lo:[0,0,1] neg_hi:[0,0,1]
	s_waitcnt vmcnt(2)
	v_pk_mul_f32 v[146:147], v[52:53], v[18:19] op_sel:[1,0]
	s_waitcnt vmcnt(0)
	v_mov_b32_e32 v186, v23
	v_mov_b32_e32 v187, v25
	;; [unrolled: 1-line block ×6, first 2 shown]
	v_pk_mul_f32 v[56:57], v[56:57], v[180:181]
	v_mov_b32_e32 v180, v17
	v_mov_b32_e32 v181, v25
	;; [unrolled: 1-line block ×4, first 2 shown]
	v_pk_fma_f32 v[200:201], v[52:53], v[18:19], v[146:147] op_sel:[0,0,1] op_sel_hi:[1,1,0] neg_lo:[0,0,1] neg_hi:[0,0,1]
	v_pk_fma_f32 v[52:53], v[52:53], v[18:19], v[146:147] op_sel:[0,0,1] op_sel_hi:[0,1,0]
	v_pk_mul_f32 v[146:147], v[42:43], v[186:187]
	v_pk_mul_f32 v[188:189], v[0:1], v[20:21] op_sel_hi:[0,1]
	v_mov_b32_e32 v190, v16
	v_mov_b32_e32 v191, v24
	;; [unrolled: 1-line block ×4, first 2 shown]
	v_pk_mul_f32 v[62:63], v[48:49], v[62:63]
	v_mov_b32_e32 v43, v49
	v_pk_fma_f32 v[202:203], v[140:141], v[178:179], v[56:57] neg_lo:[0,0,1] neg_hi:[0,0,1]
	v_pk_fma_f32 v[56:57], v[140:141], v[178:179], v[56:57]
	v_pk_mul_f32 v[48:49], v[142:143], v[180:181]
	v_pk_fma_f32 v[140:141], v[130:131], v[194:195], v[146:147] neg_lo:[0,0,1] neg_hi:[0,0,1]
	v_mov_b32_e32 v131, v129
	v_mov_b32_e32 v125, v28
	v_mov_b32_e32 v198, v22
	v_mov_b32_e32 v199, v26
	v_pk_fma_f32 v[186:187], v[50:51], v[20:21], v[188:189] op_sel:[0,0,1] op_sel_hi:[1,1,0] neg_lo:[0,0,1] neg_hi:[0,0,1]
	v_pk_fma_f32 v[188:189], v[50:51], v[20:21], v[188:189] op_sel:[0,0,1] op_sel_hi:[0,1,0]
	v_pk_fma_f32 v[134:135], v[134:135], v[190:191], v[48:49]
	v_pk_mul_f32 v[48:49], v[130:131], v[196:197]
	v_mov_b32_e32 v50, v47
	v_mov_b32_e32 v28, v37
	;; [unrolled: 1-line block ×5, first 2 shown]
	v_pk_fma_f32 v[42:43], v[42:43], v[198:199], v[48:49]
	v_pk_mul_f32 v[48:49], v[50:51], v[28:29]
	v_pk_fma_f32 v[62:63], v[128:129], v[192:193], v[62:63] neg_lo:[0,0,1] neg_hi:[0,0,1]
	v_pk_fma_f32 v[50:51], v[148:149], v[124:125], v[48:49] neg_lo:[0,0,1] neg_hi:[0,0,1]
	v_pk_fma_f32 v[128:129], v[148:149], v[124:125], v[48:49]
	v_mov_b32_e32 v48, v30
	v_mov_b32_e32 v49, v33
	v_pk_fma_f32 v[130:131], v[138:139], v[48:49], v[136:137]
	v_mul_f32_e32 v132, v132, v35
	v_fma_f32 v183, v60, v38, -v4
	v_mul_f32_e32 v46, v46, v37
	v_mov_b32_e32 v182, v145
	v_mov_b32_e32 v60, v131
	v_fmac_f32_e32 v132, v133, v34
	v_fmac_f32_e32 v46, v47, v36
	v_mov_b32_e32 v47, v50
	v_mov_b32_e32 v133, v202
	;; [unrolled: 1-line block ×4, first 2 shown]
	v_add_f32_e32 v56, v183, v61
	v_pk_add_f32 v[130:131], v[182:183], v[60:61] neg_lo:[0,1] neg_hi:[0,1]
	v_mov_b32_e32 v51, v129
	v_mov_b32_e32 v60, v57
	;; [unrolled: 1-line block ×5, first 2 shown]
	v_add_f32_e32 v137, v46, v132
	v_pk_add_f32 v[46:47], v[46:47], v[132:133] neg_lo:[0,1] neg_hi:[0,1]
	v_pk_add_f32 v[132:133], v[58:59], v[184:185]
	v_pk_add_f32 v[58:59], v[60:61], v[128:129] neg_lo:[0,1] neg_hi:[0,1]
	v_mov_b32_e32 v203, v57
	v_mov_b32_e32 v60, v58
	;; [unrolled: 1-line block ×5, first 2 shown]
	v_pk_add_f32 v[50:51], v[50:51], v[202:203]
	v_pk_add_f32 v[60:61], v[60:61], v[128:129] neg_lo:[0,1] neg_hi:[0,1]
	v_mov_b32_e32 v128, v46
	v_pk_add_f32 v[138:139], v[58:59], v[130:131]
	v_mov_b32_e32 v59, v131
	v_pk_add_f32 v[58:59], v[128:129], v[58:59] neg_lo:[0,1] neg_hi:[0,1]
	v_add_f32_e32 v128, v56, v50
	v_mov_b32_e32 v129, v51
	v_add_f32_e32 v143, v133, v137
	v_mov_b32_e32 v142, v132
	v_pk_add_f32 v[128:129], v[128:129], v[142:143]
	v_mov_b32_e32 v136, v132
	v_mov_b32_e32 v57, v51
	v_pk_add_f32 v[44:45], v[44:45], v[128:129]
	v_pk_add_f32 v[142:143], v[136:137], v[56:57] neg_lo:[0,1] neg_hi:[0,1]
	v_pk_mul_f32 v[144:145], v[60:61], s[22:23]
	v_pk_mul_f32 v[142:143], v[142:143], s[16:17]
	v_pk_fma_f32 v[146:147], v[128:129], s[18:19], v[44:45] op_sel_hi:[1,0,1]
	v_pk_add_f32 v[128:129], v[50:51], v[132:133] neg_lo:[0,1] neg_hi:[0,1]
	v_pk_add_f32 v[138:139], v[138:139], v[46:47]
	v_pk_fma_f32 v[60:61], v[128:129], s[20:21], v[142:143]
	v_pk_fma_f32 v[148:149], v[58:59], s[14:15], v[144:145]
	v_pk_add_f32 v[60:61], v[60:61], v[146:147]
	v_pk_fma_f32 v[148:149], v[138:139], s[10:11], v[148:149] op_sel_hi:[1,0,1]
	v_pk_add_f32 v[190:191], v[134:135], v[42:43]
	v_pk_add_f32 v[184:185], v[60:61], v[148:149] neg_lo:[0,1] neg_hi:[0,1]
	v_pk_add_f32 v[148:149], v[60:61], v[148:149]
	v_mov_b32_e32 v61, v185
	v_mov_b32_e32 v60, v148
	;; [unrolled: 1-line block ×4, first 2 shown]
	ds_write2_b64 v64, v[44:45], v[60:61] offset1:96
	v_mov_b32_e32 v60, v134
	v_mov_b32_e32 v61, v43
	;; [unrolled: 1-line block ×3, first 2 shown]
	v_pk_add_f32 v[134:135], v[200:201], v[186:187]
	v_mov_b32_e32 v3, v190
	v_pk_add_f32 v[44:45], v[62:63], v[140:141] neg_lo:[0,1] neg_hi:[0,1]
	v_pk_add_f32 v[140:141], v[140:141], v[62:63]
	v_pk_add_f32 v[42:43], v[60:61], v[42:43] neg_lo:[0,1] neg_hi:[0,1]
	v_pk_add_f32 v[60:61], v[134:135], v[2:3]
	v_mov_b32_e32 v57, v133
	v_pk_add_f32 v[178:179], v[60:61], v[190:191]
	v_pk_add_f32 v[60:61], v[134:135], v[140:141]
	v_mov_b32_e32 v51, v137
	v_mov_b32_e32 v3, v60
	v_pk_add_f32 v[182:183], v[2:3], v[140:141]
	s_mov_b32 s18, 0x3f3bfb3b
	v_mov_b32_e32 v178, v183
	v_pk_add_f32 v[60:61], v[40:41], v[178:179]
	v_pk_mul_f32 v[40:41], v[128:129], s[20:21]
	v_pk_mul_f32 v[58:59], v[58:59], s[14:15]
	s_mov_b32 s19, 0x3f955555
	s_mov_b32 s22, 0x3f5ff5aa
	v_pk_add_f32 v[50:51], v[56:57], v[50:51] neg_lo:[0,1] neg_hi:[0,1]
	v_pk_add_f32 v[46:47], v[130:131], v[46:47] neg_lo:[0,1] neg_hi:[0,1]
	v_mov_b32_e32 v56, v142
	v_mov_b32_e32 v57, v41
	;; [unrolled: 1-line block ×6, first 2 shown]
	v_pk_fma_f32 v[56:57], v[50:51], s[18:19], v[56:57] op_sel_hi:[1,0,1] neg_lo:[0,0,1] neg_hi:[0,0,1]
	v_pk_fma_f32 v[128:129], v[46:47], s[22:23], v[128:129] op_sel_hi:[1,0,1] neg_lo:[0,0,1] neg_hi:[0,0,1]
	;; [unrolled: 1-line block ×4, first 2 shown]
	v_pk_add_f32 v[56:57], v[56:57], v[146:147]
	v_pk_fma_f32 v[128:129], v[138:139], s[10:11], v[128:129] op_sel_hi:[1,0,1]
	v_pk_add_f32 v[40:41], v[40:41], v[146:147]
	v_pk_fma_f32 v[46:47], v[138:139], s[10:11], v[46:47] op_sel_hi:[1,0,1]
	v_pk_add_f32 v[52:53], v[200:201], v[186:187] neg_lo:[0,1] neg_hi:[0,1]
	v_pk_add_f32 v[136:137], v[56:57], v[128:129] neg_lo:[0,1] neg_hi:[0,1]
	v_pk_add_f32 v[186:187], v[56:57], v[128:129]
	v_pk_add_f32 v[138:139], v[40:41], v[46:47] neg_lo:[0,1] neg_hi:[0,1]
	v_pk_add_f32 v[142:143], v[40:41], v[46:47]
	v_mov_b32_e32 v56, v45
	v_mov_b32_e32 v57, v52
	;; [unrolled: 1-line block ×8, first 2 shown]
	v_add_u32_e32 v31, 0x400, v64
	v_pk_add_f32 v[56:57], v[44:45], v[56:57] neg_lo:[0,1] neg_hi:[0,1]
	ds_write2_b64 v31, v[40:41], v[58:59] offset0:64 offset1:160
	v_pk_add_f32 v[40:41], v[52:53], v[50:51] op_sel:[1,0] op_sel_hi:[0,1] neg_lo:[0,1] neg_hi:[0,1]
	v_pk_mul_f32 v[128:129], v[56:57], s[14:15]
	v_pk_mul_f32 v[130:131], v[40:41], s[22:23] op_sel_hi:[1,0]
	v_mov_b32_e32 v41, v128
	v_xor_b32_e32 v40, 0x80000000, v131
	v_mov_b32_e32 v0, v135
	v_pk_fma_f32 v[144:145], v[56:57], s[14:15], v[40:41] neg_lo:[1,0,0] neg_hi:[1,0,0]
	v_pk_fma_f32 v[40:41], v[56:57], s[14:15], v[40:41]
	v_mov_b32_e32 v44, v43
	v_pk_add_f32 v[62:63], v[0:1], v[190:191] neg_lo:[0,1] neg_hi:[0,1]
	v_mov_b32_e32 v145, v41
	v_pk_add_f32 v[40:41], v[44:45], v[52:53] op_sel:[0,1] op_sel_hi:[1,0]
	v_mov_b32_e32 v52, v43
	v_sub_f32_e32 v128, v190, v191
	v_mov_b32_e32 v190, v141
	v_pk_add_f32 v[42:43], v[42:43], v[52:53] neg_lo:[0,1] neg_hi:[0,1]
	v_pk_add_f32 v[52:53], v[190:191], v[134:135] neg_lo:[0,1] neg_hi:[0,1]
	;; [unrolled: 1-line block ×3, first 2 shown]
	v_pk_mul_f32 v[134:135], v[52:53], s[16:17] op_sel_hi:[1,0]
	v_pk_mul_f32 v[52:53], v[42:43], s[14:15]
	v_mov_b32_e32 v187, v137
	v_mov_b32_e32 v139, v143
	v_mul_f32_e32 v136, 0xbf4a47b2, v128
	v_add_u32_e32 v178, 0x800, v64
	v_mov_b32_e32 v137, v52
	v_mov_b32_e32 v63, v179
	ds_write2_b64 v178, v[186:187], v[138:139] offset0:128 offset1:224
	v_pk_fma_f32 v[138:139], v[42:43], s[14:15], v[136:137]
	v_mov_b32_e32 v137, v61
	v_pk_add_f32 v[50:51], v[40:41], v[50:51]
	v_pk_fma_f32 v[42:43], v[42:43], s[14:15], v[130:131] neg_lo:[1,0,1] neg_hi:[1,0,1]
	v_pk_fma_f32 v[136:137], v[62:63], s[18:19], v[136:137] neg_lo:[1,0,0] neg_hi:[1,0,0]
	v_sub_f32_e32 v146, v140, v141
	v_mov_b32_e32 v43, v139
	v_fmamk_f32 v141, v128, 0x3f4a47b2, v135
	v_pk_mul_f32 v[138:139], v[50:51], s[10:11] op_sel_hi:[1,0]
	v_mov_b32_e32 v140, v137
	v_mov_b32_e32 v133, v183
	v_pk_add_f32 v[142:143], v[138:139], v[144:145] op_sel:[1,0]
	v_pk_add_f32 v[144:145], v[136:137], v[140:141]
	v_mul_f32_e32 v140, 0xbf4a47b2, v146
	v_mov_b32_e32 v141, v60
	v_pk_fma_f32 v[140:141], v[132:133], s[18:19], v[140:141] neg_lo:[1,0,0] neg_hi:[1,0,0]
	v_fmamk_f32 v51, v146, 0x3f4a47b2, v134
	v_mov_b32_e32 v50, v141
	v_mov_b32_e32 v185, v149
	v_pk_add_f32 v[146:147], v[140:141], v[50:51]
	v_pk_add_f32 v[148:149], v[138:139], v[42:43] op_sel_hi:[0,1]
	v_lshlrev_b32_e32 v182, 4, v109
	v_lshlrev_b32_e32 v181, 4, v111
	;; [unrolled: 1-line block ×4, first 2 shown]
	v_mov_b32_e32 v58, v94
	v_mov_b32_e32 v59, v94
	;; [unrolled: 1-line block ×22, first 2 shown]
	v_pk_add_f32 v[50:51], v[142:143], v[144:145]
	v_mov_b32_e32 v52, v35
	v_pk_add_f32 v[42:43], v[146:147], v[148:149] neg_lo:[0,1] neg_hi:[0,1]
	ds_write_b64 v64, v[184:185] offset:4608
	s_and_saveexec_b64 s[10:11], s[0:1]
	s_cbranch_execz .LBB0_7
; %bb.6:
	v_mov_b32_e32 v128, v149
	v_mov_b32_e32 v136, v147
	v_pk_add_f32 v[184:185], v[128:129], v[136:137]
	v_pk_add_f32 v[186:187], v[144:145], v[142:143] neg_lo:[0,1] neg_hi:[0,1]
	v_pk_mul_f32 v[62:63], v[62:63], s[18:19]
	v_mov_b32_e32 v185, v187
	v_pk_mul_f32 v[132:133], v[132:133], s[18:19]
	ds_write2_b64 v64, v[60:61], v[184:185] offset0:56 offset1:152
	v_mov_b32_e32 v61, v144
	v_mov_b32_e32 v144, v146
	v_mov_b32_e32 v145, v142
	v_pk_add_f32 v[142:143], v[148:149], v[146:147]
	v_pk_add_f32 v[60:61], v[60:61], v[144:145] neg_lo:[0,1] neg_hi:[0,1]
	v_mov_b32_e32 v128, v53
	v_mov_b32_e32 v133, v62
	;; [unrolled: 1-line block ×3, first 2 shown]
	v_pk_add_f32 v[60:61], v[130:131], v[128:129] neg_lo:[0,1] neg_hi:[0,1]
	v_pk_add_f32 v[62:63], v[132:133], v[134:135] neg_lo:[0,1] neg_hi:[0,1]
	v_mov_b32_e32 v136, v141
	v_pk_add_f32 v[60:61], v[138:139], v[60:61]
	v_pk_add_f32 v[62:63], v[62:63], v[136:137]
	v_add_u32_e32 v53, 0xc00, v64
	v_pk_add_f32 v[128:129], v[62:63], v[60:61] neg_lo:[0,1] neg_hi:[0,1]
	v_pk_add_f32 v[60:61], v[62:63], v[60:61]
	v_mov_b32_e32 v62, v128
	v_mov_b32_e32 v63, v61
	ds_write2_b64 v31, v[142:143], v[62:63] offset0:120 offset1:216
	v_mov_b32_e32 v61, v129
	v_mov_b32_e32 v62, v42
	;; [unrolled: 1-line block ×3, first 2 shown]
	ds_write2_b64 v53, v[60:61], v[62:63] offset0:56 offset1:152
	v_mov_b32_e32 v60, v43
	v_mov_b32_e32 v61, v51
	ds_write_b64 v64, v[60:61] offset:5056
.LBB0_7:
	s_or_b64 exec, exec, s[10:11]
	v_lshlrev_b32_e32 v60, 3, v72
	v_mov_b32_e32 v61, 0
	v_lshl_add_u64 v[60:61], s[8:9], 0, v[60:61]
	s_mov_b64 s[8:9], 0x1500
	v_add_co_u32_e32 v128, vcc, 0x1000, v60
	v_lshl_add_u64 v[62:63], v[60:61], 0, s[8:9]
	s_nop 0
	v_addc_co_u32_e32 v129, vcc, 0, v61, vcc
	s_waitcnt lgkmcnt(0)
	; wave barrier
	s_waitcnt lgkmcnt(0)
	global_load_dwordx2 v[130:131], v[62:63], off offset:448
	s_movk_i32 s8, 0x2000
	global_load_dwordx2 v[128:129], v[128:129], off offset:1280
	s_nop 0
	global_load_dwordx2 v[144:145], v[62:63], off offset:2688
	global_load_dwordx2 v[146:147], v[62:63], off offset:3136
	;; [unrolled: 1-line block ×3, first 2 shown]
	v_add_co_u32_e32 v60, vcc, s8, v60
	v_add_u32_e32 v53, 0x1000, v64
	s_nop 0
	v_addc_co_u32_e32 v61, vcc, 0, v61, vcc
	global_load_dwordx2 v[184:185], v[62:63], off offset:3584
	global_load_dwordx2 v[186:187], v[62:63], off offset:1344
	;; [unrolled: 1-line block ×7, first 2 shown]
	ds_read2_b64 v[60:63], v64 offset1:56
	v_add_u32_e32 v183, 0xc00, v64
	s_mov_b32 s8, 0x3f5db3d7
	s_waitcnt vmcnt(11) lgkmcnt(0)
	v_mul_f32_e32 v132, v63, v131
	v_mul_f32_e32 v199, v62, v131
	s_waitcnt vmcnt(10)
	v_mul_f32_e32 v133, v61, v129
	v_mul_f32_e32 v131, v60, v129
	v_fma_f32 v198, v62, v130, -v132
	v_fmac_f32_e32 v199, v63, v130
	v_fma_f32 v130, v60, v128, -v133
	v_fmac_f32_e32 v131, v61, v128
	ds_write_b64 v64, v[130:131]
	ds_read2_b64 v[60:63], v178 offset0:80 offset1:136
	ds_read2_b64 v[128:131], v64 offset0:112 offset1:168
	;; [unrolled: 1-line block ×5, first 2 shown]
	s_waitcnt vmcnt(9) lgkmcnt(4)
	v_mul_f32_e32 v200, v61, v145
	v_mul_f32_e32 v201, v60, v145
	s_waitcnt vmcnt(8)
	v_mul_f32_e32 v202, v63, v147
	v_mul_f32_e32 v145, v62, v147
	s_waitcnt vmcnt(7) lgkmcnt(3)
	v_mul_f32_e32 v203, v129, v149
	v_mul_f32_e32 v147, v128, v149
	s_waitcnt vmcnt(6) lgkmcnt(2)
	v_mul_f32_e32 v204, v133, v185
	v_mul_f32_e32 v149, v132, v185
	s_waitcnt vmcnt(5)
	v_mul_f32_e32 v205, v131, v187
	v_mul_f32_e32 v185, v130, v187
	s_waitcnt vmcnt(2)
	v_mul_f32_e32 v206, v135, v193
	v_mul_f32_e32 v187, v134, v193
	s_waitcnt vmcnt(1) lgkmcnt(1)
	v_mul_f32_e32 v207, v137, v195
	v_mul_f32_e32 v193, v136, v195
	s_waitcnt lgkmcnt(0)
	v_mul_f32_e32 v208, v141, v189
	v_mul_f32_e32 v195, v140, v189
	s_waitcnt vmcnt(0)
	v_mul_f32_e32 v209, v139, v197
	v_mul_f32_e32 v189, v138, v197
	;; [unrolled: 1-line block ×4, first 2 shown]
	v_fma_f32 v200, v60, v144, -v200
	v_fmac_f32_e32 v201, v61, v144
	v_fma_f32 v144, v62, v146, -v202
	v_fmac_f32_e32 v145, v63, v146
	;; [unrolled: 2-line block ×10, first 2 shown]
	ds_write2_b64 v64, v[198:199], v[146:147] offset0:56 offset1:112
	ds_write2_b64 v178, v[144:145], v[148:149] offset0:136 offset1:192
	;; [unrolled: 1-line block ×5, first 2 shown]
	ds_write_b64 v64, v[196:197] offset:4928
	s_waitcnt lgkmcnt(0)
	; wave barrier
	s_waitcnt lgkmcnt(0)
	ds_read2_b64 v[60:63], v64 offset1:56
	ds_read2_b64 v[128:131], v178 offset0:80 offset1:136
	ds_read2_b64 v[132:135], v64 offset0:112 offset1:168
	;; [unrolled: 1-line block ×3, first 2 shown]
	s_waitcnt lgkmcnt(2)
	v_pk_add_f32 v[142:143], v[60:61], v[128:129] neg_lo:[0,1] neg_hi:[0,1]
	v_pk_add_f32 v[130:131], v[62:63], v[130:131] neg_lo:[0,1] neg_hi:[0,1]
	v_pk_fma_f32 v[140:141], v[60:61], 2.0, v[142:143] op_sel_hi:[1,0,1] neg_lo:[0,0,1] neg_hi:[0,0,1]
	v_pk_fma_f32 v[128:129], v[62:63], 2.0, v[130:131] op_sel_hi:[1,0,1] neg_lo:[0,0,1] neg_hi:[0,0,1]
	ds_read2_b64 v[60:63], v31 offset0:96 offset1:152
	ds_read2_b64 v[144:147], v53 offset0:48 offset1:104
	s_waitcnt lgkmcnt(2)
	v_pk_add_f32 v[186:187], v[132:133], v[136:137] neg_lo:[0,1] neg_hi:[0,1]
	v_pk_add_f32 v[136:137], v[134:135], v[138:139] neg_lo:[0,1] neg_hi:[0,1]
	v_pk_fma_f32 v[184:185], v[132:133], 2.0, v[186:187] op_sel_hi:[1,0,1] neg_lo:[0,0,1] neg_hi:[0,0,1]
	v_pk_fma_f32 v[134:135], v[134:135], 2.0, v[136:137] op_sel_hi:[1,0,1] neg_lo:[0,0,1] neg_hi:[0,0,1]
	s_waitcnt lgkmcnt(0)
	v_pk_add_f32 v[190:191], v[60:61], v[144:145] neg_lo:[0,1] neg_hi:[0,1]
	v_pk_add_f32 v[146:147], v[62:63], v[146:147] neg_lo:[0,1] neg_hi:[0,1]
	v_pk_fma_f32 v[188:189], v[60:61], 2.0, v[190:191] op_sel_hi:[1,0,1] neg_lo:[0,0,1] neg_hi:[0,0,1]
	v_pk_fma_f32 v[144:145], v[62:63], 2.0, v[146:147] op_sel_hi:[1,0,1] neg_lo:[0,0,1] neg_hi:[0,0,1]
	s_waitcnt lgkmcnt(0)
	; wave barrier
	ds_write_b128 v73, v[140:143]
	ds_write_b128 v81, v[128:131]
	;; [unrolled: 1-line block ×6, first 2 shown]
	s_waitcnt lgkmcnt(0)
	; wave barrier
	s_waitcnt lgkmcnt(0)
	ds_read2_b64 v[60:63], v53 offset0:48 offset1:104
	ds_read2_b64 v[128:131], v31 offset0:96 offset1:152
	s_waitcnt lgkmcnt(1)
	v_pk_mul_f32 v[132:133], v[94:95], v[62:63]
	s_nop 0
	v_pk_fma_f32 v[134:135], v[58:59], v[62:63], v[132:133] op_sel:[0,0,1] op_sel_hi:[1,1,0]
	v_pk_fma_f32 v[62:63], v[58:59], v[62:63], v[132:133] op_sel:[0,0,1] op_sel_hi:[1,1,0] neg_lo:[0,0,1] neg_hi:[0,0,1]
	s_nop 0
	v_mov_b32_e32 v135, v63
	s_waitcnt lgkmcnt(0)
	v_pk_add_f32 v[132:133], v[130:131], v[134:135] neg_lo:[0,1] neg_hi:[0,1]
	v_pk_mul_f32 v[62:63], v[94:95], v[60:61]
	v_pk_fma_f32 v[134:135], v[130:131], 2.0, v[132:133] op_sel_hi:[1,0,1] neg_lo:[0,0,1] neg_hi:[0,0,1]
	v_pk_fma_f32 v[130:131], v[58:59], v[60:61], v[62:63] op_sel:[0,0,1] op_sel_hi:[1,1,0]
	v_pk_fma_f32 v[136:137], v[58:59], v[60:61], v[62:63] op_sel:[0,0,1] op_sel_hi:[1,1,0] neg_lo:[0,0,1] neg_hi:[0,0,1]
	ds_read2_b64 v[60:63], v178 offset0:192 offset1:248
	v_mov_b32_e32 v131, v137
	v_pk_add_f32 v[136:137], v[128:129], v[130:131] neg_lo:[0,1] neg_hi:[0,1]
	s_waitcnt lgkmcnt(0)
	v_pk_mul_f32 v[140:141], v[94:95], v[62:63]
	v_pk_fma_f32 v[138:139], v[128:129], 2.0, v[136:137] op_sel_hi:[1,0,1] neg_lo:[0,0,1] neg_hi:[0,0,1]
	ds_read2_b64 v[128:131], v64 offset0:112 offset1:168
	v_pk_fma_f32 v[142:143], v[58:59], v[62:63], v[140:141] op_sel:[0,0,1] op_sel_hi:[1,1,0]
	v_pk_fma_f32 v[62:63], v[58:59], v[62:63], v[140:141] op_sel:[0,0,1] op_sel_hi:[1,1,0] neg_lo:[0,0,1] neg_hi:[0,0,1]
	s_nop 0
	v_mov_b32_e32 v143, v63
	s_waitcnt lgkmcnt(0)
	v_pk_add_f32 v[140:141], v[130:131], v[142:143] neg_lo:[0,1] neg_hi:[0,1]
	v_pk_mul_f32 v[62:63], v[94:95], v[60:61]
	v_pk_fma_f32 v[142:143], v[130:131], 2.0, v[140:141] op_sel_hi:[1,0,1] neg_lo:[0,0,1] neg_hi:[0,0,1]
	v_pk_fma_f32 v[130:131], v[58:59], v[60:61], v[62:63] op_sel:[0,0,1] op_sel_hi:[1,1,0]
	v_pk_fma_f32 v[144:145], v[58:59], v[60:61], v[62:63] op_sel:[0,0,1] op_sel_hi:[1,1,0] neg_lo:[0,0,1] neg_hi:[0,0,1]
	ds_read2_b64 v[60:63], v178 offset0:80 offset1:136
	v_mov_b32_e32 v131, v145
	v_pk_add_f32 v[144:145], v[128:129], v[130:131] neg_lo:[0,1] neg_hi:[0,1]
	s_waitcnt lgkmcnt(0)
	v_pk_mul_f32 v[148:149], v[94:95], v[62:63]
	v_pk_fma_f32 v[146:147], v[128:129], 2.0, v[144:145] op_sel_hi:[1,0,1] neg_lo:[0,0,1] neg_hi:[0,0,1]
	ds_read2_b64 v[128:131], v64 offset1:56
	v_pk_mul_f32 v[94:95], v[94:95], v[60:61]
	v_pk_fma_f32 v[180:181], v[58:59], v[62:63], v[148:149] op_sel:[0,0,1] op_sel_hi:[1,1,0]
	v_pk_fma_f32 v[62:63], v[58:59], v[62:63], v[148:149] op_sel:[0,0,1] op_sel_hi:[1,1,0] neg_lo:[0,0,1] neg_hi:[0,0,1]
	v_pk_fma_f32 v[148:149], v[58:59], v[60:61], v[94:95] op_sel:[0,0,1] op_sel_hi:[1,1,0]
	v_pk_fma_f32 v[58:59], v[58:59], v[60:61], v[94:95] op_sel:[0,0,1] op_sel_hi:[1,1,0] neg_lo:[0,0,1] neg_hi:[0,0,1]
	v_mov_b32_e32 v181, v63
	v_mov_b32_e32 v149, v59
	s_waitcnt lgkmcnt(0)
	v_pk_add_f32 v[62:63], v[130:131], v[180:181] neg_lo:[0,1] neg_hi:[0,1]
	v_pk_add_f32 v[58:59], v[128:129], v[148:149] neg_lo:[0,1] neg_hi:[0,1]
	v_pk_fma_f32 v[130:131], v[130:131], 2.0, v[62:63] op_sel_hi:[1,0,1] neg_lo:[0,0,1] neg_hi:[0,0,1]
	v_pk_fma_f32 v[60:61], v[128:129], 2.0, v[58:59] op_sel_hi:[1,0,1] neg_lo:[0,0,1] neg_hi:[0,0,1]
	s_waitcnt lgkmcnt(0)
	; wave barrier
	ds_write2_b64 v150, v[60:61], v[58:59] offset1:2
	ds_write2_b64 v151, v[130:131], v[62:63] offset1:2
	ds_write2_b64 v152, v[146:147], v[144:145] offset1:2
	ds_write2_b64 v153, v[142:143], v[140:141] offset1:2
	ds_write2_b64 v154, v[138:139], v[136:137] offset1:2
	ds_write2_b64 v155, v[134:135], v[132:133] offset1:2
	s_waitcnt lgkmcnt(0)
	; wave barrier
	s_waitcnt lgkmcnt(0)
	ds_read2_b64 v[58:61], v53 offset0:48 offset1:104
	ds_read2_b64 v[128:131], v31 offset0:96 offset1:152
	s_waitcnt lgkmcnt(1)
	v_pk_mul_f32 v[62:63], v[96:97], v[60:61]
	s_nop 0
	v_pk_fma_f32 v[94:95], v[56:57], v[60:61], v[62:63] op_sel:[0,0,1] op_sel_hi:[1,1,0]
	v_pk_fma_f32 v[60:61], v[56:57], v[60:61], v[62:63] op_sel:[0,0,1] op_sel_hi:[1,1,0] neg_lo:[0,0,1] neg_hi:[0,0,1]
	s_nop 0
	v_mov_b32_e32 v95, v61
	s_waitcnt lgkmcnt(0)
	v_pk_add_f32 v[62:63], v[130:131], v[94:95] neg_lo:[0,1] neg_hi:[0,1]
	v_pk_mul_f32 v[60:61], v[96:97], v[58:59]
	v_pk_fma_f32 v[94:95], v[130:131], 2.0, v[62:63] op_sel_hi:[1,0,1] neg_lo:[0,0,1] neg_hi:[0,0,1]
	v_pk_fma_f32 v[130:131], v[56:57], v[58:59], v[60:61] op_sel:[0,0,1] op_sel_hi:[1,1,0]
	v_pk_fma_f32 v[132:133], v[56:57], v[58:59], v[60:61] op_sel:[0,0,1] op_sel_hi:[1,1,0] neg_lo:[0,0,1] neg_hi:[0,0,1]
	ds_read2_b64 v[58:61], v178 offset0:192 offset1:248
	v_mov_b32_e32 v131, v133
	v_pk_add_f32 v[132:133], v[128:129], v[130:131] neg_lo:[0,1] neg_hi:[0,1]
	s_waitcnt lgkmcnt(0)
	v_pk_mul_f32 v[136:137], v[96:97], v[60:61]
	v_pk_fma_f32 v[134:135], v[128:129], 2.0, v[132:133] op_sel_hi:[1,0,1] neg_lo:[0,0,1] neg_hi:[0,0,1]
	ds_read2_b64 v[128:131], v64 offset0:112 offset1:168
	v_pk_fma_f32 v[138:139], v[56:57], v[60:61], v[136:137] op_sel:[0,0,1] op_sel_hi:[1,1,0]
	v_pk_fma_f32 v[60:61], v[56:57], v[60:61], v[136:137] op_sel:[0,0,1] op_sel_hi:[1,1,0] neg_lo:[0,0,1] neg_hi:[0,0,1]
	s_nop 0
	v_mov_b32_e32 v139, v61
	s_waitcnt lgkmcnt(0)
	v_pk_add_f32 v[136:137], v[130:131], v[138:139] neg_lo:[0,1] neg_hi:[0,1]
	v_pk_mul_f32 v[60:61], v[96:97], v[58:59]
	v_pk_fma_f32 v[138:139], v[130:131], 2.0, v[136:137] op_sel_hi:[1,0,1] neg_lo:[0,0,1] neg_hi:[0,0,1]
	v_pk_fma_f32 v[130:131], v[56:57], v[58:59], v[60:61] op_sel:[0,0,1] op_sel_hi:[1,1,0]
	v_pk_fma_f32 v[140:141], v[56:57], v[58:59], v[60:61] op_sel:[0,0,1] op_sel_hi:[1,1,0] neg_lo:[0,0,1] neg_hi:[0,0,1]
	ds_read2_b64 v[58:61], v178 offset0:80 offset1:136
	v_mov_b32_e32 v131, v141
	v_pk_add_f32 v[140:141], v[128:129], v[130:131] neg_lo:[0,1] neg_hi:[0,1]
	s_waitcnt lgkmcnt(0)
	v_pk_mul_f32 v[144:145], v[96:97], v[60:61]
	v_pk_fma_f32 v[142:143], v[128:129], 2.0, v[140:141] op_sel_hi:[1,0,1] neg_lo:[0,0,1] neg_hi:[0,0,1]
	ds_read2_b64 v[128:131], v64 offset1:56
	v_pk_mul_f32 v[96:97], v[96:97], v[58:59]
	v_pk_fma_f32 v[146:147], v[56:57], v[60:61], v[144:145] op_sel:[0,0,1] op_sel_hi:[1,1,0]
	v_pk_fma_f32 v[60:61], v[56:57], v[60:61], v[144:145] op_sel:[0,0,1] op_sel_hi:[1,1,0] neg_lo:[0,0,1] neg_hi:[0,0,1]
	v_pk_fma_f32 v[144:145], v[56:57], v[58:59], v[96:97] op_sel:[0,0,1] op_sel_hi:[1,1,0]
	v_pk_fma_f32 v[56:57], v[56:57], v[58:59], v[96:97] op_sel:[0,0,1] op_sel_hi:[1,1,0] neg_lo:[0,0,1] neg_hi:[0,0,1]
	v_mov_b32_e32 v147, v61
	v_mov_b32_e32 v145, v57
	s_waitcnt lgkmcnt(0)
	v_pk_add_f32 v[56:57], v[128:129], v[144:145] neg_lo:[0,1] neg_hi:[0,1]
	v_pk_add_f32 v[60:61], v[130:131], v[146:147] neg_lo:[0,1] neg_hi:[0,1]
	v_pk_fma_f32 v[58:59], v[128:129], 2.0, v[56:57] op_sel_hi:[1,0,1] neg_lo:[0,0,1] neg_hi:[0,0,1]
	v_pk_fma_f32 v[130:131], v[130:131], 2.0, v[60:61] op_sel_hi:[1,0,1] neg_lo:[0,0,1] neg_hi:[0,0,1]
	s_waitcnt lgkmcnt(0)
	; wave barrier
	ds_write2_b64 v156, v[58:59], v[56:57] offset1:4
	ds_write2_b64 v157, v[130:131], v[60:61] offset1:4
	ds_write2_b64 v158, v[142:143], v[140:141] offset1:4
	ds_write2_b64 v159, v[138:139], v[136:137] offset1:4
	ds_write2_b64 v160, v[134:135], v[132:133] offset1:4
	ds_write2_b64 v161, v[94:95], v[62:63] offset1:4
	;; [unrolled: 62-line block ×3, first 2 shown]
	s_waitcnt lgkmcnt(0)
	; wave barrier
	s_waitcnt lgkmcnt(0)
	ds_read2_b64 v[56:59], v53 offset0:48 offset1:104
	ds_read2_b64 v[60:63], v31 offset0:96 offset1:152
	s_waitcnt lgkmcnt(1)
	v_pk_mul_f32 v[46:47], v[108:109], v[58:59]
	s_nop 0
	v_pk_fma_f32 v[94:95], v[44:45], v[58:59], v[46:47] op_sel:[0,0,1] op_sel_hi:[1,1,0]
	v_pk_fma_f32 v[44:45], v[44:45], v[58:59], v[46:47] op_sel:[0,0,1] op_sel_hi:[1,1,0] neg_lo:[0,0,1] neg_hi:[0,0,1]
	s_nop 0
	v_mov_b32_e32 v95, v45
	v_pk_mul_f32 v[44:45], v[100:101], v[56:57]
	s_waitcnt lgkmcnt(0)
	v_pk_add_f32 v[94:95], v[62:63], v[94:95] neg_lo:[0,1] neg_hi:[0,1]
	v_pk_fma_f32 v[58:59], v[40:41], v[56:57], v[44:45] op_sel:[0,0,1] op_sel_hi:[1,1,0]
	v_pk_fma_f32 v[56:57], v[40:41], v[56:57], v[44:45] op_sel:[0,0,1] op_sel_hi:[1,1,0] neg_lo:[0,0,1] neg_hi:[0,0,1]
	ds_read2_b64 v[44:47], v178 offset0:192 offset1:248
	v_mov_b32_e32 v59, v57
	v_pk_add_f32 v[96:97], v[60:61], v[58:59] neg_lo:[0,1] neg_hi:[0,1]
	ds_read2_b64 v[56:59], v64 offset0:112 offset1:168
	v_pk_fma_f32 v[62:63], v[62:63], 2.0, v[94:95] op_sel_hi:[1,0,1] neg_lo:[0,0,1] neg_hi:[0,0,1]
	s_waitcnt lgkmcnt(1)
	v_pk_mul_f32 v[98:99], v[110:111], v[46:47]
	v_pk_fma_f32 v[60:61], v[60:61], 2.0, v[96:97] op_sel_hi:[1,0,1] neg_lo:[0,0,1] neg_hi:[0,0,1]
	v_pk_fma_f32 v[108:109], v[106:107], v[46:47], v[98:99] op_sel:[0,0,1] op_sel_hi:[1,1,0]
	v_pk_fma_f32 v[46:47], v[106:107], v[46:47], v[98:99] op_sel:[0,0,1] op_sel_hi:[1,1,0] neg_lo:[0,0,1] neg_hi:[0,0,1]
	s_nop 0
	v_mov_b32_e32 v109, v47
	s_waitcnt lgkmcnt(0)
	v_pk_add_f32 v[98:99], v[58:59], v[108:109] neg_lo:[0,1] neg_hi:[0,1]
	v_pk_mul_f32 v[46:47], v[100:101], v[44:45]
	v_pk_fma_f32 v[106:107], v[58:59], 2.0, v[98:99] op_sel_hi:[1,0,1] neg_lo:[0,0,1] neg_hi:[0,0,1]
	v_pk_fma_f32 v[58:59], v[40:41], v[44:45], v[46:47] op_sel:[0,0,1] op_sel_hi:[1,1,0]
	v_pk_fma_f32 v[108:109], v[40:41], v[44:45], v[46:47] op_sel:[0,0,1] op_sel_hi:[1,1,0] neg_lo:[0,0,1] neg_hi:[0,0,1]
	ds_read2_b64 v[44:47], v178 offset0:80 offset1:136
	v_mov_b32_e32 v59, v109
	v_pk_add_f32 v[108:109], v[56:57], v[58:59] neg_lo:[0,1] neg_hi:[0,1]
	s_waitcnt lgkmcnt(0)
	v_pk_mul_f32 v[102:103], v[102:103], v[46:47]
	v_pk_fma_f32 v[110:111], v[56:57], 2.0, v[108:109] op_sel_hi:[1,0,1] neg_lo:[0,0,1] neg_hi:[0,0,1]
	ds_read2_b64 v[56:59], v64 offset1:56
	v_pk_mul_f32 v[100:101], v[100:101], v[44:45]
	v_pk_fma_f32 v[128:129], v[104:105], v[46:47], v[102:103] op_sel:[0,0,1] op_sel_hi:[1,1,0]
	v_pk_fma_f32 v[46:47], v[104:105], v[46:47], v[102:103] op_sel:[0,0,1] op_sel_hi:[1,1,0] neg_lo:[0,0,1] neg_hi:[0,0,1]
	v_pk_fma_f32 v[102:103], v[40:41], v[44:45], v[100:101] op_sel:[0,0,1] op_sel_hi:[1,1,0]
	v_pk_fma_f32 v[40:41], v[40:41], v[44:45], v[100:101] op_sel:[0,0,1] op_sel_hi:[1,1,0] neg_lo:[0,0,1] neg_hi:[0,0,1]
	v_mov_b32_e32 v129, v47
	v_mov_b32_e32 v103, v41
	s_waitcnt lgkmcnt(0)
	v_pk_add_f32 v[46:47], v[58:59], v[128:129] neg_lo:[0,1] neg_hi:[0,1]
	v_pk_add_f32 v[40:41], v[56:57], v[102:103] neg_lo:[0,1] neg_hi:[0,1]
	v_pk_fma_f32 v[58:59], v[58:59], 2.0, v[46:47] op_sel_hi:[1,0,1] neg_lo:[0,0,1] neg_hi:[0,0,1]
	v_pk_fma_f32 v[44:45], v[56:57], 2.0, v[40:41] op_sel_hi:[1,0,1] neg_lo:[0,0,1] neg_hi:[0,0,1]
	s_waitcnt lgkmcnt(0)
	; wave barrier
	ds_write2_b64 v168, v[44:45], v[40:41] offset1:16
	ds_write2_b64 v169, v[58:59], v[46:47] offset1:16
	;; [unrolled: 1-line block ×6, first 2 shown]
	s_waitcnt lgkmcnt(0)
	; wave barrier
	s_waitcnt lgkmcnt(0)
	ds_read2_b64 v[44:47], v178 offset0:80 offset1:136
	ds_read2_b64 v[56:59], v53 offset0:48 offset1:104
	ds_read2_b64 v[60:63], v64 offset0:112 offset1:168
	s_waitcnt lgkmcnt(2)
	v_pk_mul_f32 v[12:13], v[12:13], v[44:45]
	s_nop 0
	v_pk_fma_f32 v[98:99], v[120:121], v[44:45], v[12:13] op_sel:[0,0,1] op_sel_hi:[1,1,0]
	v_pk_fma_f32 v[12:13], v[120:121], v[44:45], v[12:13] op_sel:[0,0,1] op_sel_hi:[1,1,0] neg_lo:[0,0,1] neg_hi:[0,0,1]
	s_nop 0
	v_mov_b32_e32 v99, v13
	s_waitcnt lgkmcnt(1)
	v_pk_mul_f32 v[12:13], v[122:123], v[56:57]
	s_nop 0
	v_pk_fma_f32 v[100:101], v[14:15], v[56:57], v[12:13] op_sel:[0,0,1] op_sel_hi:[1,1,0]
	v_pk_fma_f32 v[12:13], v[14:15], v[56:57], v[12:13] op_sel:[0,0,1] op_sel_hi:[1,1,0] neg_lo:[0,0,1] neg_hi:[0,0,1]
	s_nop 0
	v_mov_b32_e32 v101, v13
	v_pk_add_f32 v[12:13], v[98:99], v[100:101]
	v_pk_add_f32 v[14:15], v[98:99], v[100:101] neg_lo:[0,1] neg_hi:[0,1]
	s_waitcnt lgkmcnt(0)
	v_pk_fma_f32 v[12:13], v[12:13], 0.5, v[60:61] op_sel_hi:[1,0,1] neg_lo:[1,0,0] neg_hi:[1,0,0]
	v_pk_mul_f32 v[14:15], v[14:15], s[8:9] op_sel_hi:[1,0]
	s_nop 0
	v_pk_add_f32 v[40:41], v[12:13], v[14:15] op_sel:[0,1] op_sel_hi:[1,0] neg_lo:[0,1] neg_hi:[0,1]
	v_pk_add_f32 v[14:15], v[12:13], v[14:15] op_sel:[0,1] op_sel_hi:[1,0]
	v_mov_b32_e32 v12, v40
	v_mov_b32_e32 v13, v15
	;; [unrolled: 1-line block ×3, first 2 shown]
	v_pk_mul_f32 v[40:41], v[8:9], v[46:47] op_sel:[0,1]
	s_nop 0
	v_pk_fma_f32 v[44:45], v[8:9], v[46:47], v[40:41] op_sel:[0,0,1] op_sel_hi:[1,0,0] neg_lo:[1,0,0] neg_hi:[1,0,0]
	v_pk_fma_f32 v[8:9], v[8:9], v[46:47], v[40:41] op_sel:[0,0,1] op_sel_hi:[1,0,0]
	v_pk_mul_f32 v[40:41], v[10:11], v[58:59] op_sel:[0,1]
	v_mov_b32_e32 v9, v45
	v_pk_fma_f32 v[44:45], v[10:11], v[58:59], v[40:41] op_sel:[0,0,1] op_sel_hi:[1,0,0] neg_lo:[1,0,0] neg_hi:[1,0,0]
	v_pk_fma_f32 v[10:11], v[10:11], v[58:59], v[40:41] op_sel:[0,0,1] op_sel_hi:[1,0,0]
	s_nop 0
	v_mov_b32_e32 v11, v45
	v_pk_add_f32 v[40:41], v[8:9], v[10:11]
	s_nop 0
	v_pk_fma_f32 v[44:45], v[40:41], 0.5, v[62:63] op_sel_hi:[1,0,1] neg_lo:[1,0,0] neg_hi:[1,0,0]
	v_pk_add_f32 v[40:41], v[8:9], v[10:11] neg_lo:[0,1] neg_hi:[0,1]
	v_pk_add_f32 v[8:9], v[62:63], v[8:9]
	v_pk_mul_f32 v[46:47], v[40:41], s[8:9] op_sel_hi:[1,0]
	v_pk_add_f32 v[8:9], v[8:9], v[10:11]
	v_pk_add_f32 v[40:41], v[44:45], v[46:47] op_sel:[0,1] op_sel_hi:[1,0]
	v_pk_add_f32 v[56:57], v[44:45], v[46:47] op_sel:[0,1] op_sel_hi:[1,0] neg_lo:[0,1] neg_hi:[0,1]
	ds_read2_b64 v[44:47], v31 offset0:96 offset1:152
	v_mov_b32_e32 v10, v56
	v_mov_b32_e32 v11, v41
	;; [unrolled: 1-line block ×3, first 2 shown]
	ds_read2_b64 v[56:59], v64 offset1:56
	ds_read2_b64 v[94:97], v178 offset0:192 offset1:248
	s_waitcnt lgkmcnt(2)
	v_pk_mul_f32 v[0:1], v[0:1], v[46:47]
	s_waitcnt lgkmcnt(0)
	v_pk_fma_f32 v[62:63], v[116:117], v[46:47], v[0:1] op_sel:[0,0,1] op_sel_hi:[1,1,0]
	v_pk_fma_f32 v[0:1], v[116:117], v[46:47], v[0:1] op_sel:[0,0,1] op_sel_hi:[1,1,0] neg_lo:[0,0,1] neg_hi:[0,0,1]
	; wave barrier
	s_nop 0
	v_mov_b32_e32 v63, v1
	v_pk_mul_f32 v[0:1], v[118:119], v[96:97]
	s_nop 0
	v_pk_fma_f32 v[46:47], v[2:3], v[96:97], v[0:1] op_sel:[0,0,1] op_sel_hi:[1,1,0]
	v_pk_fma_f32 v[0:1], v[2:3], v[96:97], v[0:1] op_sel:[0,0,1] op_sel_hi:[1,1,0] neg_lo:[0,0,1] neg_hi:[0,0,1]
	v_pk_mul_f32 v[2:3], v[4:5], v[44:45]
	v_mov_b32_e32 v47, v1
	v_pk_fma_f32 v[4:5], v[112:113], v[44:45], v[2:3] op_sel:[0,0,1] op_sel_hi:[1,1,0]
	v_pk_fma_f32 v[2:3], v[112:113], v[44:45], v[2:3] op_sel:[0,0,1] op_sel_hi:[1,1,0] neg_lo:[0,0,1] neg_hi:[0,0,1]
	v_pk_add_f32 v[0:1], v[58:59], v[62:63]
	v_mov_b32_e32 v5, v3
	v_pk_mul_f32 v[2:3], v[114:115], v[94:95]
	v_pk_add_f32 v[0:1], v[0:1], v[46:47]
	v_pk_fma_f32 v[44:45], v[6:7], v[94:95], v[2:3] op_sel:[0,0,1] op_sel_hi:[1,1,0]
	v_pk_fma_f32 v[2:3], v[6:7], v[94:95], v[2:3] op_sel:[0,0,1] op_sel_hi:[1,1,0] neg_lo:[0,0,1] neg_hi:[0,0,1]
	s_nop 0
	v_mov_b32_e32 v45, v3
	v_pk_add_f32 v[2:3], v[56:57], v[4:5]
	v_pk_add_f32 v[6:7], v[4:5], v[44:45]
	v_pk_add_f32 v[4:5], v[4:5], v[44:45] neg_lo:[0,1] neg_hi:[0,1]
	v_pk_fma_f32 v[6:7], v[6:7], 0.5, v[56:57] op_sel_hi:[1,0,1] neg_lo:[1,0,0] neg_hi:[1,0,0]
	v_pk_mul_f32 v[4:5], v[4:5], s[8:9] op_sel_hi:[1,0]
	v_pk_add_f32 v[2:3], v[2:3], v[44:45]
	v_pk_add_f32 v[44:45], v[6:7], v[4:5] op_sel:[0,1] op_sel_hi:[1,0] neg_lo:[0,1] neg_hi:[0,1]
	v_pk_add_f32 v[4:5], v[6:7], v[4:5] op_sel:[0,1] op_sel_hi:[1,0]
	v_mov_b32_e32 v6, v44
	v_mov_b32_e32 v7, v5
	;; [unrolled: 1-line block ×3, first 2 shown]
	ds_write2_b64 v174, v[2:3], v[6:7] offset1:32
	ds_write_b64 v174, v[4:5] offset:512
	v_pk_add_f32 v[2:3], v[62:63], v[46:47]
	v_pk_add_f32 v[4:5], v[62:63], v[46:47] neg_lo:[0,1] neg_hi:[0,1]
	v_pk_fma_f32 v[2:3], v[2:3], 0.5, v[58:59] op_sel_hi:[1,0,1] neg_lo:[1,0,0] neg_hi:[1,0,0]
	v_pk_mul_f32 v[4:5], v[4:5], s[8:9] op_sel_hi:[1,0]
	s_nop 0
	v_pk_add_f32 v[6:7], v[2:3], v[4:5] op_sel:[0,1] op_sel_hi:[1,0] neg_lo:[0,1] neg_hi:[0,1]
	v_pk_add_f32 v[2:3], v[2:3], v[4:5] op_sel:[0,1] op_sel_hi:[1,0]
	v_mov_b32_e32 v4, v6
	v_mov_b32_e32 v5, v3
	ds_write2_b64 v175, v[0:1], v[4:5] offset1:32
	v_pk_add_f32 v[0:1], v[60:61], v[98:99]
	v_mov_b32_e32 v3, v7
	v_pk_add_f32 v[0:1], v[0:1], v[100:101]
	ds_write_b64 v175, v[2:3] offset:512
	ds_write2_b64 v176, v[0:1], v[12:13] offset1:32
	ds_write_b64 v176, v[14:15] offset:512
	ds_write2_b64 v177, v[8:9], v[10:11] offset1:32
	ds_write_b64 v177, v[40:41] offset:512
	s_waitcnt lgkmcnt(0)
	; wave barrier
	s_waitcnt lgkmcnt(0)
	ds_read2_b64 v[0:3], v64 offset1:96
	ds_read2_b64 v[44:47], v31 offset0:64 offset1:160
	ds_read2_b64 v[4:7], v178 offset0:128 offset1:224
	ds_read_b64 v[56:57], v64 offset:4608
	s_and_saveexec_b64 s[8:9], s[2:3]
	s_xor_b64 s[2:3], exec, s[8:9]
	s_andn2_saveexec_b64 s[2:3], s[2:3]
	s_cbranch_execz .LBB0_9
; %bb.8:
	v_add_u32_e32 v8, 0xc00, v64
	ds_read2_b64 v[12:15], v64 offset0:56 offset1:152
	ds_read2_b64 v[40:43], v8 offset0:56 offset1:152
	ds_read_b64 v[58:59], v64 offset:5056
	v_add_u32_e32 v8, 0x400, v64
	ds_read2_b64 v[8:11], v8 offset0:120 offset1:216
	s_waitcnt lgkmcnt(2)
	v_mov_b32_e32 v50, v43
	s_waitcnt lgkmcnt(1)
	v_mov_b32_e32 v51, v59
	v_mov_b32_e32 v43, v58
.LBB0_9:
	s_or_b64 exec, exec, s[2:3]
	s_waitcnt lgkmcnt(3)
	v_mov_b32_e32 v58, v3
	v_mov_b32_e32 v62, v2
	s_waitcnt lgkmcnt(2)
	v_mov_b32_e32 v63, v47
	v_mov_b32_e32 v59, v46
	v_pk_mul_f32 v[2:3], v[36:37], v[2:3] op_sel:[0,1] op_sel_hi:[1,0]
	v_pk_mul_f32 v[36:37], v[38:39], v[44:45]
	v_mov_b32_e32 v95, v38
	v_mov_b32_e32 v38, v46
	;; [unrolled: 1-line block ×4, first 2 shown]
	s_waitcnt lgkmcnt(0)
	v_mov_b32_e32 v60, v57
	v_mov_b32_e32 v39, v45
	v_pk_mul_f32 v[44:45], v[126:127], v[46:47]
	v_mov_b32_e32 v46, v4
	v_mov_b32_e32 v47, v6
	;; [unrolled: 1-line block ×4, first 2 shown]
	v_pk_mul_f32 v[46:47], v[48:49], v[46:47]
	v_mov_b32_e32 v48, v5
	v_mov_b32_e32 v49, v7
	;; [unrolled: 1-line block ×3, first 2 shown]
	v_pk_mul_f32 v[4:5], v[52:53], v[60:61]
	v_mul_f32_e32 v53, v32, v6
	v_mul_f32_e32 v7, v33, v7
	v_pk_mul_f32 v[32:33], v[34:35], v[56:57] op_sel:[0,1] op_sel_hi:[1,0]
	v_mov_b32_e32 v96, v34
	v_mov_b32_e32 v34, v2
	;; [unrolled: 1-line block ×4, first 2 shown]
	v_pk_add_f32 v[2:3], v[34:35], v[32:33] neg_lo:[0,1] neg_hi:[0,1]
	v_pk_mul_f32 v[28:29], v[28:29], v[58:59]
	v_mov_b32_e32 v58, v125
	v_mov_b32_e32 v94, v125
	;; [unrolled: 1-line block ×7, first 2 shown]
	v_pk_add_f32 v[6:7], v[52:53], v[6:7]
	v_pk_add_f32 v[32:33], v[32:33], v[2:3]
	v_pk_fma_f32 v[36:37], v[58:59], v[38:39], v[44:45]
	v_pk_fma_f32 v[38:39], v[94:95], v[38:39], v[44:45] neg_lo:[0,0,1] neg_hi:[0,0,1]
	v_pk_fma_f32 v[44:45], v[124:125], v[62:63], v[28:29]
	v_pk_fma_f32 v[52:53], v[54:55], v[48:49], v[46:47]
	v_pk_fma_f32 v[46:47], v[54:55], v[48:49], v[46:47] neg_lo:[0,0,1] neg_hi:[0,0,1]
	v_pk_fma_f32 v[48:49], v[96:97], v[30:31], v[4:5]
	v_mov_b32_e32 v32, v7
	v_pk_fma_f32 v[28:29], v[124:125], v[62:63], v[28:29] neg_lo:[0,0,1] neg_hi:[0,0,1]
	v_pk_fma_f32 v[4:5], v[96:97], v[30:31], v[4:5] neg_lo:[0,0,1] neg_hi:[0,0,1]
	v_mov_b32_e32 v30, v2
	v_mov_b32_e32 v31, v44
	;; [unrolled: 1-line block ×4, first 2 shown]
	v_pk_add_f32 v[34:35], v[6:7], v[32:33]
	v_mov_b32_e32 v37, v39
	v_mov_b32_e32 v45, v29
	;; [unrolled: 1-line block ×4, first 2 shown]
	v_pk_add_f32 v[2:3], v[30:31], v[2:3] neg_lo:[0,1] neg_hi:[0,1]
	v_mov_b32_e32 v30, v39
	v_mov_b32_e32 v31, v6
	;; [unrolled: 1-line block ×3, first 2 shown]
	v_pk_add_f32 v[6:7], v[30:31], v[6:7] neg_lo:[0,1] neg_hi:[0,1]
	v_pk_add_f32 v[30:31], v[36:37], v[52:53]
	v_pk_add_f32 v[38:39], v[44:45], v[48:49]
	v_mov_b32_e32 v4, v5
	v_mov_b32_e32 v5, v52
	;; [unrolled: 1-line block ×4, first 2 shown]
	v_pk_add_f32 v[4:5], v[4:5], v[28:29] neg_lo:[0,1] neg_hi:[0,1]
	v_mov_b32_e32 v35, v31
	v_mov_b32_e32 v32, v38
	;; [unrolled: 1-line block ×6, first 2 shown]
	s_mov_b32 s22, 0xbeae86e6
	v_pk_add_f32 v[28:29], v[34:35], v[32:33]
	v_pk_add_f32 v[36:37], v[36:37], v[44:45] neg_lo:[0,1] neg_hi:[0,1]
	v_pk_add_f32 v[44:45], v[38:39], v[30:31] neg_lo:[0,1] neg_hi:[0,1]
	v_mov_b32_e32 v48, v4
	v_mov_b32_e32 v49, v3
	;; [unrolled: 1-line block ×5, first 2 shown]
	s_mov_b32 s14, 0x3d64c772
	s_mov_b32 s23, 0x3f08b237
	v_pk_add_f32 v[46:47], v[4:5], v[6:7]
	v_pk_add_f32 v[48:49], v[48:49], v[52:53] neg_lo:[0,1] neg_hi:[0,1]
	v_mov_b32_e32 v52, v2
	v_mov_b32_e32 v5, v7
	v_pk_add_f32 v[28:29], v[30:31], v[28:29]
	s_mov_b32 s15, 0x3f4a47b2
	s_mov_b32 s24, s23
	;; [unrolled: 1-line block ×3, first 2 shown]
	v_pk_add_f32 v[4:5], v[52:53], v[4:5] neg_lo:[0,1] neg_hi:[0,1]
	v_pk_add_f32 v[0:1], v[0:1], v[28:29]
	s_mov_b32 s8, 0xbf955555
	v_pk_mul_f32 v[36:37], v[36:37], s[14:15]
	s_mov_b32 s18, s15
	s_mov_b32 s19, s14
	v_pk_mul_f32 v[48:49], v[48:49], s[24:25]
	v_pk_add_f32 v[30:31], v[46:47], v[2:3]
	v_pk_mul_f32 v[38:39], v[44:45], s[18:19]
	s_mov_b32 s2, 0xbee1c552
	v_pk_mul_f32 v[46:47], v[4:5], s[22:23]
	v_pk_fma_f32 v[28:29], v[28:29], s[8:9], v[0:1] op_sel_hi:[1,0,1]
	v_pk_fma_f32 v[44:45], v[44:45], s[18:19], v[36:37]
	v_pk_fma_f32 v[4:5], v[4:5], s[22:23], v[48:49]
	v_pk_add_f32 v[44:45], v[44:45], v[28:29]
	v_pk_fma_f32 v[4:5], v[30:31], s[2:3], v[4:5] op_sel_hi:[1,0,1]
	v_pk_add_f32 v[2:3], v[6:7], v[2:3] neg_lo:[0,1] neg_hi:[0,1]
	v_pk_add_f32 v[52:53], v[44:45], v[4:5] neg_lo:[0,1] neg_hi:[0,1]
	v_pk_add_f32 v[4:5], v[44:45], v[4:5]
	v_mov_b32_e32 v45, v53
	v_mov_b32_e32 v44, v4
	ds_write2_b64 v64, v[0:1], v[44:45] offset1:96
	v_pk_add_f32 v[0:1], v[34:35], v[32:33] neg_lo:[0,1] neg_hi:[0,1]
	s_mov_b32 s10, 0x3f3bfb3b
	s_mov_b32 s16, 0xbf5ff5aa
	v_mov_b32_e32 v6, v36
	v_mov_b32_e32 v7, v39
	;; [unrolled: 1-line block ×6, first 2 shown]
	v_pk_fma_f32 v[6:7], v[0:1], s[10:11], v[6:7] op_sel_hi:[1,0,1] neg_lo:[0,0,1] neg_hi:[0,0,1]
	v_pk_fma_f32 v[32:33], v[2:3], s[16:17], v[32:33] op_sel_hi:[1,0,1] neg_lo:[0,0,1] neg_hi:[0,0,1]
	;; [unrolled: 1-line block ×4, first 2 shown]
	v_pk_add_f32 v[6:7], v[6:7], v[28:29]
	v_pk_fma_f32 v[32:33], v[30:31], s[2:3], v[32:33] op_sel_hi:[1,0,1]
	v_pk_add_f32 v[0:1], v[0:1], v[28:29]
	v_pk_fma_f32 v[2:3], v[30:31], s[2:3], v[2:3] op_sel_hi:[1,0,1]
	v_pk_add_f32 v[34:35], v[6:7], v[32:33] neg_lo:[0,1] neg_hi:[0,1]
	v_pk_add_f32 v[6:7], v[6:7], v[32:33]
	v_pk_add_f32 v[28:29], v[0:1], v[2:3] neg_lo:[0,1] neg_hi:[0,1]
	v_pk_add_f32 v[0:1], v[0:1], v[2:3]
	v_mov_b32_e32 v32, v34
	v_mov_b32_e32 v33, v7
	;; [unrolled: 1-line block ×5, first 2 shown]
	v_add_u32_e32 v0, 0x400, v64
	v_mov_b32_e32 v29, v1
	v_add_u32_e32 v1, 0x800, v64
	v_mov_b32_e32 v53, v5
	ds_write2_b64 v0, v[2:3], v[32:33] offset0:64 offset1:160
	ds_write2_b64 v1, v[6:7], v[28:29] offset0:128 offset1:224
	ds_write_b64 v64, v[52:53] offset:4608
	s_and_saveexec_b64 s[20:21], s[0:1]
	s_cbranch_execz .LBB0_11
; %bb.10:
	v_mov_b32_e32 v2, v25
	v_mov_b32_e32 v3, v24
	v_pk_mul_f32 v[38:39], v[2:3], v[10:11]
	v_mov_b32_e32 v4, v27
	v_mov_b32_e32 v5, v26
	;; [unrolled: 1-line block ×4, first 2 shown]
	v_pk_mul_f32 v[24:25], v[24:25], v[10:11]
	v_pk_mul_f32 v[32:33], v[2:3], v[32:33]
	v_pk_fma_f32 v[2:3], v[2:3], v[10:11], v[38:39] neg_lo:[1,0,0] neg_hi:[1,0,0]
	v_pk_mul_f32 v[10:11], v[4:5], v[40:41]
	v_pk_mul_f32 v[28:29], v[22:23], v[42:43] op_sel:[0,1]
	v_mov_b32_e32 v30, v41
	v_mov_b32_e32 v10, v11
	v_pk_mul_f32 v[6:7], v[16:17], v[14:15] op_sel_hi:[1,0]
	v_mov_b32_e32 v14, v15
	v_pk_mul_f32 v[30:31], v[4:5], v[30:31]
	v_pk_fma_f32 v[4:5], v[4:5], v[40:41], v[10:11] neg_lo:[1,0,0] neg_hi:[1,0,0]
	v_pk_fma_f32 v[10:11], v[22:23], v[50:51], v[28:29] op_sel:[0,1,1] op_sel_hi:[1,1,0] neg_lo:[0,0,1] neg_hi:[0,0,1]
	v_pk_fma_f32 v[22:23], v[22:23], v[50:51], v[28:29] op_sel:[0,1,1] op_sel_hi:[1,1,0]
	v_pk_mul_f32 v[36:37], v[20:21], v[42:43] op_sel_hi:[1,0]
	v_mov_b32_e32 v11, v23
	v_pk_fma_f32 v[22:23], v[16:17], v[14:15], v[6:7] op_sel:[0,0,1] op_sel_hi:[1,0,0] neg_lo:[0,0,1] neg_hi:[0,0,1]
	v_pk_fma_f32 v[6:7], v[16:17], v[14:15], v[6:7] op_sel:[0,0,1] op_sel_hi:[1,0,0]
	v_pk_mul_f32 v[34:35], v[18:19], v[8:9] op_sel_hi:[1,0]
	v_mov_b32_e32 v23, v7
	v_pk_fma_f32 v[6:7], v[20:21], v[50:51], v[36:37] op_sel:[0,0,1] op_sel_hi:[1,1,0] neg_lo:[0,0,1] neg_hi:[0,0,1]
	v_pk_fma_f32 v[14:15], v[20:21], v[50:51], v[36:37] op_sel:[0,0,1] op_sel_hi:[1,0,0]
	v_pk_mul_f32 v[26:27], v[26:27], v[40:41]
	v_mov_b32_e32 v7, v15
	v_pk_fma_f32 v[14:15], v[18:19], v[8:9], v[34:35] op_sel:[0,1,1] op_sel_hi:[1,1,0] neg_lo:[0,0,1] neg_hi:[0,0,1]
	v_pk_fma_f32 v[8:9], v[18:19], v[8:9], v[34:35] op_sel:[0,1,1] op_sel_hi:[1,1,0]
	v_mov_b32_e32 v25, v10
	v_mov_b32_e32 v15, v9
	;; [unrolled: 1-line block ×5, first 2 shown]
	v_pk_add_f32 v[8:9], v[10:11], v[22:23]
	v_pk_add_f32 v[16:17], v[6:7], v[14:15]
	v_pk_add_f32 v[18:19], v[22:23], v[10:11] neg_lo:[0,1] neg_hi:[0,1]
	v_pk_add_f32 v[20:21], v[14:15], v[6:7] neg_lo:[0,1] neg_hi:[0,1]
	v_pk_add_f32 v[10:11], v[24:25], v[32:33]
	v_pk_add_f32 v[6:7], v[26:27], v[30:31]
	v_mov_b32_e32 v3, v10
	v_mov_b32_e32 v5, v6
	v_pk_add_f32 v[14:15], v[4:5], v[2:3] neg_lo:[0,1] neg_hi:[0,1]
	v_mov_b32_e32 v29, v19
	v_mov_b32_e32 v24, v14
	v_pk_add_f32 v[26:27], v[14:15], v[20:21]
	v_mov_b32_e32 v28, v14
	v_mov_b32_e32 v14, v20
	;; [unrolled: 1-line block ×3, first 2 shown]
	v_pk_add_f32 v[14:15], v[28:29], v[14:15] neg_lo:[0,1] neg_hi:[0,1]
	v_mov_b32_e32 v28, v17
	v_mov_b32_e32 v29, v4
	;; [unrolled: 1-line block ×4, first 2 shown]
	v_pk_add_f32 v[2:3], v[28:29], v[4:5]
	v_pk_add_f32 v[4:5], v[6:7], v[10:11]
	v_mov_b32_e32 v22, v18
	v_pk_add_f32 v[28:29], v[2:3], v[4:5]
	v_mov_b32_e32 v2, v9
	v_mov_b32_e32 v5, v7
	v_pk_add_f32 v[30:31], v[2:3], v[4:5] neg_lo:[0,1] neg_hi:[0,1]
	v_mov_b32_e32 v5, v11
	v_mov_b32_e32 v2, v17
	;; [unrolled: 1-line block ×3, first 2 shown]
	v_pk_add_f32 v[2:3], v[4:5], v[2:3] neg_lo:[0,1] neg_hi:[0,1]
	v_pk_add_f32 v[22:23], v[22:23], v[24:25] neg_lo:[0,1] neg_hi:[0,1]
	v_pk_mul_f32 v[14:15], v[14:15], s[24:25]
	v_pk_add_f32 v[12:13], v[12:13], v[28:29]
	v_pk_mul_f32 v[2:3], v[2:3], s[14:15]
	v_pk_mul_f32 v[24:25], v[22:23], s[22:23]
	v_pk_add_f32 v[26:27], v[26:27], v[18:19]
	v_pk_fma_f32 v[22:23], v[22:23], s[22:23], v[14:15]
	v_pk_fma_f32 v[4:5], v[30:31], s[18:19], v[2:3]
	v_pk_fma_f32 v[28:29], v[28:29], s[8:9], v[12:13] op_sel_hi:[1,0,1]
	v_pk_fma_f32 v[22:23], v[26:27], s[2:3], v[22:23] op_sel_hi:[1,0,1]
	v_pk_add_f32 v[4:5], v[4:5], v[28:29]
	v_pk_mul_f32 v[32:33], v[30:31], s[18:19]
	v_pk_add_f32 v[30:31], v[4:5], v[22:23]
	v_pk_add_f32 v[4:5], v[4:5], v[22:23] neg_lo:[0,1] neg_hi:[0,1]
	v_mov_b32_e32 v22, v30
	v_mov_b32_e32 v23, v5
	;; [unrolled: 1-line block ×4, first 2 shown]
	ds_write2_b64 v64, v[12:13], v[22:23] offset0:56 offset1:152
	v_pk_add_f32 v[12:13], v[20:21], v[18:19] neg_lo:[0,1] neg_hi:[0,1]
	v_mov_b32_e32 v18, v24
	v_mov_b32_e32 v19, v15
	v_pk_add_f32 v[6:7], v[6:7], v[10:11] neg_lo:[0,1] neg_hi:[0,1]
	v_mov_b32_e32 v8, v32
	v_mov_b32_e32 v9, v3
	;; [unrolled: 1-line block ×4, first 2 shown]
	v_pk_fma_f32 v[18:19], v[12:13], s[16:17], v[18:19] op_sel_hi:[1,0,1] neg_lo:[1,0,1] neg_hi:[1,0,1]
	v_pk_fma_f32 v[8:9], v[6:7], s[10:11], v[8:9] op_sel_hi:[1,0,1] neg_lo:[1,0,1] neg_hi:[1,0,1]
	;; [unrolled: 1-line block ×4, first 2 shown]
	v_pk_fma_f32 v[18:19], v[26:27], s[2:3], v[18:19] op_sel_hi:[1,0,1]
	v_pk_add_f32 v[8:9], v[8:9], v[28:29]
	v_pk_fma_f32 v[12:13], v[26:27], s[2:3], v[12:13] op_sel_hi:[1,0,1]
	v_pk_add_f32 v[2:3], v[2:3], v[28:29]
	v_pk_add_f32 v[10:11], v[8:9], v[18:19]
	v_pk_add_f32 v[8:9], v[8:9], v[18:19] neg_lo:[0,1] neg_hi:[0,1]
	v_pk_add_f32 v[6:7], v[2:3], v[12:13] neg_lo:[0,1] neg_hi:[0,1]
	v_pk_add_f32 v[2:3], v[2:3], v[12:13]
	v_mov_b32_e32 v17, v9
	v_mov_b32_e32 v13, v3
	;; [unrolled: 1-line block ×4, first 2 shown]
	v_add_u32_e32 v5, 0xc00, v64
	v_mov_b32_e32 v16, v10
	v_mov_b32_e32 v12, v6
	ds_write2_b64 v5, v[2:3], v[8:9] offset0:56 offset1:152
	v_mov_b32_e32 v5, v31
	ds_write2_b64 v0, v[16:17], v[12:13] offset0:120 offset1:216
	ds_write_b64 v64, v[4:5] offset:5056
.LBB0_11:
	s_or_b64 exec, exec, s[20:21]
	s_waitcnt lgkmcnt(0)
	; wave barrier
	s_waitcnt lgkmcnt(0)
	ds_read2_b64 v[2:5], v64 offset1:56
	v_mad_u64_u32 v[12:13], s[0:1], s6, v80, 0
	v_mov_b32_e32 v6, v13
	v_mad_u64_u32 v[6:7], s[0:1], s7, v80, v[6:7]
	v_mov_b32_e32 v13, v6
	s_waitcnt lgkmcnt(0)
	v_mul_f32_e32 v6, v93, v3
	v_fmac_f32_e32 v6, v92, v2
	v_mul_f32_e32 v2, v93, v2
	s_mov_b32 s0, 0x18618618
	v_fma_f32 v2, v92, v3, -v2
	s_mov_b32 s1, 0x3f586186
	v_cvt_f64_f32_e32 v[2:3], v2
	v_cvt_f64_f32_e32 v[6:7], v6
	v_mul_f64 v[2:3], v[2:3], s[0:1]
	v_mul_f64 v[6:7], v[6:7], s[0:1]
	v_cvt_f32_f64_e32 v15, v[2:3]
	v_mad_u64_u32 v[2:3], s[2:3], s4, v72, 0
	v_cvt_f32_f64_e32 v14, v[6:7]
	v_mov_b32_e32 v6, v3
	v_mad_u64_u32 v[16:17], s[2:3], s5, v72, v[6:7]
	ds_read2_b64 v[6:9], v1 offset0:80 offset1:136
	v_mov_b32_e32 v10, s12
	v_mov_b32_e32 v11, s13
	v_lshl_add_u64 v[10:11], v[12:13], 3, v[10:11]
	v_mov_b32_e32 v3, v16
	s_waitcnt lgkmcnt(0)
	v_mul_f32_e32 v12, v91, v7
	v_fmac_f32_e32 v12, v90, v6
	v_mul_f32_e32 v6, v91, v6
	v_fma_f32 v6, v90, v7, -v6
	v_lshl_add_u64 v[2:3], v[2:3], 3, v[10:11]
	v_cvt_f64_f32_e32 v[12:13], v12
	v_cvt_f64_f32_e32 v[6:7], v6
	v_mov_b32_e32 v16, 0xa80
	global_store_dwordx2 v[2:3], v[14:15], off
	v_mul_f64 v[12:13], v[12:13], s[0:1]
	v_mul_f64 v[6:7], v[6:7], s[0:1]
	v_mad_u64_u32 v[2:3], s[2:3], s4, v16, v[2:3]
	v_cvt_f32_f64_e32 v12, v[12:13]
	v_cvt_f32_f64_e32 v13, v[6:7]
	s_mul_i32 s2, s5, 0xa80
	v_mul_f32_e32 v6, v85, v5
	v_add_u32_e32 v3, s2, v3
	v_fmac_f32_e32 v6, v84, v4
	v_mul_f32_e32 v4, v85, v4
	v_mov_b32_e32 v17, 0xfffff740
	global_store_dwordx2 v[2:3], v[12:13], off
	v_fma_f32 v4, v84, v5, -v4
	v_mad_u64_u32 v[12:13], s[6:7], s4, v17, v[2:3]
	v_mul_f32_e32 v2, v83, v9
	v_cvt_f64_f32_e32 v[6:7], v6
	v_cvt_f64_f32_e32 v[4:5], v4
	s_mul_i32 s3, s5, 0xfffff740
	v_fmac_f32_e32 v2, v82, v8
	v_mul_f64 v[6:7], v[6:7], s[0:1]
	v_mul_f64 v[4:5], v[4:5], s[0:1]
	s_sub_i32 s3, s3, s4
	v_cvt_f64_f32_e32 v[2:3], v2
	v_cvt_f32_f64_e32 v6, v[6:7]
	v_cvt_f32_f64_e32 v7, v[4:5]
	v_add_u32_e32 v13, s3, v13
	v_mul_f64 v[2:3], v[2:3], s[0:1]
	global_store_dwordx2 v[12:13], v[6:7], off
	v_cvt_f32_f64_e32 v6, v[2:3]
	v_mul_f32_e32 v2, v83, v8
	v_fma_f32 v2, v82, v9, -v2
	v_cvt_f64_f32_e32 v[2:3], v2
	v_mul_f64 v[2:3], v[2:3], s[0:1]
	v_cvt_f32_f64_e32 v7, v[2:3]
	ds_read2_b64 v[2:5], v64 offset0:112 offset1:168
	v_mad_u64_u32 v[12:13], s[6:7], s4, v16, v[12:13]
	v_add_u32_e32 v13, s2, v13
	global_store_dwordx2 v[12:13], v[6:7], off
	s_waitcnt lgkmcnt(0)
	v_mul_f32_e32 v6, v89, v3
	v_fmac_f32_e32 v6, v88, v2
	v_cvt_f64_f32_e32 v[6:7], v6
	v_mul_f64 v[6:7], v[6:7], s[0:1]
	v_cvt_f32_f64_e32 v14, v[6:7]
	ds_read2_b64 v[6:9], v1 offset0:192 offset1:248
	v_mul_f32_e32 v2, v89, v2
	v_fma_f32 v2, v88, v3, -v2
	v_cvt_f64_f32_e32 v[2:3], v2
	v_mul_f64 v[2:3], v[2:3], s[0:1]
	s_waitcnt lgkmcnt(0)
	v_mul_f32_e32 v1, v87, v7
	v_fmac_f32_e32 v1, v86, v6
	v_cvt_f32_f64_e32 v15, v[2:3]
	v_mad_u64_u32 v[2:3], s[6:7], s4, v17, v[12:13]
	v_cvt_f64_f32_e32 v[12:13], v1
	v_mul_f32_e32 v1, v87, v6
	v_fma_f32 v1, v86, v7, -v1
	v_cvt_f64_f32_e32 v[6:7], v1
	v_mul_f64 v[12:13], v[12:13], s[0:1]
	v_mul_f64 v[6:7], v[6:7], s[0:1]
	v_add_u32_e32 v3, s3, v3
	v_cvt_f32_f64_e32 v12, v[12:13]
	v_cvt_f32_f64_e32 v13, v[6:7]
	v_mad_u64_u32 v[6:7], s[6:7], s4, v65, 0
	global_store_dwordx2 v[2:3], v[14:15], off
	v_mov_b32_e32 v14, v7
	v_mad_u64_u32 v[14:15], s[6:7], s5, v65, v[14:15]
	v_mov_b32_e32 v7, v14
	v_mul_f32_e32 v1, v79, v5
	v_lshl_add_u64 v[6:7], v[6:7], 3, v[10:11]
	v_fmac_f32_e32 v1, v78, v4
	global_store_dwordx2 v[6:7], v[12:13], off
	v_cvt_f64_f32_e32 v[6:7], v1
	v_mul_f32_e32 v1, v79, v4
	v_fma_f32 v1, v78, v5, -v1
	v_cvt_f64_f32_e32 v[4:5], v1
	v_mul_f64 v[6:7], v[6:7], s[0:1]
	v_mul_f64 v[4:5], v[4:5], s[0:1]
	v_mov_b32_e32 v1, 0x1c0
	v_cvt_f32_f64_e32 v6, v[6:7]
	v_cvt_f32_f64_e32 v7, v[4:5]
	v_mad_u64_u32 v[4:5], s[6:7], s4, v1, v[2:3]
	v_mul_f32_e32 v1, v77, v9
	v_fmac_f32_e32 v1, v76, v8
	s_mulk_i32 s5, 0x1c0
	v_cvt_f64_f32_e32 v[2:3], v1
	v_mul_f32_e32 v1, v77, v8
	v_add_u32_e32 v5, s5, v5
	v_mul_f64 v[2:3], v[2:3], s[0:1]
	v_fma_f32 v1, v76, v9, -v1
	global_store_dwordx2 v[4:5], v[6:7], off
	v_cvt_f32_f64_e32 v6, v[2:3]
	v_cvt_f64_f32_e32 v[2:3], v1
	v_mul_f64 v[2:3], v[2:3], s[0:1]
	v_cvt_f32_f64_e32 v7, v[2:3]
	ds_read2_b64 v[0:3], v0 offset0:96 offset1:152
	v_mad_u64_u32 v[8:9], s[6:7], s4, v16, v[4:5]
	v_add_u32_e32 v9, s2, v9
	global_store_dwordx2 v[8:9], v[6:7], off
	s_waitcnt lgkmcnt(0)
	v_mul_f32_e32 v4, v75, v1
	v_fmac_f32_e32 v4, v74, v0
	v_mul_f32_e32 v0, v75, v0
	v_fma_f32 v0, v74, v1, -v0
	v_cvt_f64_f32_e32 v[0:1], v0
	v_cvt_f64_f32_e32 v[4:5], v4
	v_mul_f64 v[0:1], v[0:1], s[0:1]
	v_mul_f64 v[4:5], v[4:5], s[0:1]
	v_cvt_f32_f64_e32 v11, v[0:1]
	v_add_u32_e32 v0, 0x1000, v64
	v_cvt_f32_f64_e32 v10, v[4:5]
	ds_read2_b64 v[4:7], v0 offset0:48 offset1:104
	v_mad_u64_u32 v[0:1], s[6:7], s4, v17, v[8:9]
	v_add_u32_e32 v1, s3, v1
	global_store_dwordx2 v[0:1], v[10:11], off
	s_waitcnt lgkmcnt(0)
	v_mul_f32_e32 v8, v71, v5
	v_fmac_f32_e32 v8, v70, v4
	v_mul_f32_e32 v4, v71, v4
	v_fma_f32 v4, v70, v5, -v4
	v_cvt_f64_f32_e32 v[8:9], v8
	v_cvt_f64_f32_e32 v[4:5], v4
	v_mul_f64 v[8:9], v[8:9], s[0:1]
	v_mul_f64 v[4:5], v[4:5], s[0:1]
	v_cvt_f32_f64_e32 v8, v[8:9]
	v_cvt_f32_f64_e32 v9, v[4:5]
	v_mul_f32_e32 v4, v69, v3
	v_fmac_f32_e32 v4, v68, v2
	v_mul_f32_e32 v2, v69, v2
	v_fma_f32 v2, v68, v3, -v2
	v_cvt_f64_f32_e32 v[4:5], v4
	v_cvt_f64_f32_e32 v[2:3], v2
	v_mul_f64 v[4:5], v[4:5], s[0:1]
	v_mul_f64 v[2:3], v[2:3], s[0:1]
	v_cvt_f32_f64_e32 v4, v[4:5]
	v_cvt_f32_f64_e32 v5, v[2:3]
	v_mul_f32_e32 v2, v67, v7
	v_fmac_f32_e32 v2, v66, v6
	v_mad_u64_u32 v[0:1], s[6:7], s4, v16, v[0:1]
	v_cvt_f64_f32_e32 v[2:3], v2
	v_add_u32_e32 v1, s2, v1
	v_mul_f64 v[2:3], v[2:3], s[0:1]
	global_store_dwordx2 v[0:1], v[8:9], off
	v_mad_u64_u32 v[0:1], s[6:7], s4, v17, v[0:1]
	v_cvt_f32_f64_e32 v2, v[2:3]
	v_mul_f32_e32 v3, v67, v6
	v_add_u32_e32 v1, s3, v1
	v_fma_f32 v3, v66, v7, -v3
	global_store_dwordx2 v[0:1], v[4:5], off
	v_cvt_f64_f32_e32 v[4:5], v3
	v_mul_f64 v[4:5], v[4:5], s[0:1]
	v_mad_u64_u32 v[0:1], s[0:1], s4, v16, v[0:1]
	v_cvt_f32_f64_e32 v3, v[4:5]
	v_add_u32_e32 v1, s2, v1
	global_store_dwordx2 v[0:1], v[2:3], off
.LBB0_12:
	s_endpgm
	.section	.rodata,"a",@progbits
	.p2align	6, 0x0
	.amdhsa_kernel bluestein_single_fwd_len672_dim1_sp_op_CI_CI
		.amdhsa_group_segment_fixed_size 5376
		.amdhsa_private_segment_fixed_size 0
		.amdhsa_kernarg_size 104
		.amdhsa_user_sgpr_count 2
		.amdhsa_user_sgpr_dispatch_ptr 0
		.amdhsa_user_sgpr_queue_ptr 0
		.amdhsa_user_sgpr_kernarg_segment_ptr 1
		.amdhsa_user_sgpr_dispatch_id 0
		.amdhsa_user_sgpr_kernarg_preload_length 0
		.amdhsa_user_sgpr_kernarg_preload_offset 0
		.amdhsa_user_sgpr_private_segment_size 0
		.amdhsa_uses_dynamic_stack 0
		.amdhsa_enable_private_segment 0
		.amdhsa_system_sgpr_workgroup_id_x 1
		.amdhsa_system_sgpr_workgroup_id_y 0
		.amdhsa_system_sgpr_workgroup_id_z 0
		.amdhsa_system_sgpr_workgroup_info 0
		.amdhsa_system_vgpr_workitem_id 0
		.amdhsa_next_free_vgpr 211
		.amdhsa_next_free_sgpr 26
		.amdhsa_accum_offset 212
		.amdhsa_reserve_vcc 1
		.amdhsa_float_round_mode_32 0
		.amdhsa_float_round_mode_16_64 0
		.amdhsa_float_denorm_mode_32 3
		.amdhsa_float_denorm_mode_16_64 3
		.amdhsa_dx10_clamp 1
		.amdhsa_ieee_mode 1
		.amdhsa_fp16_overflow 0
		.amdhsa_tg_split 0
		.amdhsa_exception_fp_ieee_invalid_op 0
		.amdhsa_exception_fp_denorm_src 0
		.amdhsa_exception_fp_ieee_div_zero 0
		.amdhsa_exception_fp_ieee_overflow 0
		.amdhsa_exception_fp_ieee_underflow 0
		.amdhsa_exception_fp_ieee_inexact 0
		.amdhsa_exception_int_div_zero 0
	.end_amdhsa_kernel
	.text
.Lfunc_end0:
	.size	bluestein_single_fwd_len672_dim1_sp_op_CI_CI, .Lfunc_end0-bluestein_single_fwd_len672_dim1_sp_op_CI_CI
                                        ; -- End function
	.section	.AMDGPU.csdata,"",@progbits
; Kernel info:
; codeLenInByte = 12528
; NumSgprs: 32
; NumVgprs: 211
; NumAgprs: 0
; TotalNumVgprs: 211
; ScratchSize: 0
; MemoryBound: 0
; FloatMode: 240
; IeeeMode: 1
; LDSByteSize: 5376 bytes/workgroup (compile time only)
; SGPRBlocks: 3
; VGPRBlocks: 26
; NumSGPRsForWavesPerEU: 32
; NumVGPRsForWavesPerEU: 211
; AccumOffset: 212
; Occupancy: 2
; WaveLimiterHint : 1
; COMPUTE_PGM_RSRC2:SCRATCH_EN: 0
; COMPUTE_PGM_RSRC2:USER_SGPR: 2
; COMPUTE_PGM_RSRC2:TRAP_HANDLER: 0
; COMPUTE_PGM_RSRC2:TGID_X_EN: 1
; COMPUTE_PGM_RSRC2:TGID_Y_EN: 0
; COMPUTE_PGM_RSRC2:TGID_Z_EN: 0
; COMPUTE_PGM_RSRC2:TIDIG_COMP_CNT: 0
; COMPUTE_PGM_RSRC3_GFX90A:ACCUM_OFFSET: 52
; COMPUTE_PGM_RSRC3_GFX90A:TG_SPLIT: 0
	.text
	.p2alignl 6, 3212836864
	.fill 256, 4, 3212836864
	.type	__hip_cuid_30cb84b3104eed28,@object ; @__hip_cuid_30cb84b3104eed28
	.section	.bss,"aw",@nobits
	.globl	__hip_cuid_30cb84b3104eed28
__hip_cuid_30cb84b3104eed28:
	.byte	0                               ; 0x0
	.size	__hip_cuid_30cb84b3104eed28, 1

	.ident	"AMD clang version 19.0.0git (https://github.com/RadeonOpenCompute/llvm-project roc-6.4.0 25133 c7fe45cf4b819c5991fe208aaa96edf142730f1d)"
	.section	".note.GNU-stack","",@progbits
	.addrsig
	.addrsig_sym __hip_cuid_30cb84b3104eed28
	.amdgpu_metadata
---
amdhsa.kernels:
  - .agpr_count:     0
    .args:
      - .actual_access:  read_only
        .address_space:  global
        .offset:         0
        .size:           8
        .value_kind:     global_buffer
      - .actual_access:  read_only
        .address_space:  global
        .offset:         8
        .size:           8
        .value_kind:     global_buffer
      - .actual_access:  read_only
        .address_space:  global
        .offset:         16
        .size:           8
        .value_kind:     global_buffer
      - .actual_access:  read_only
        .address_space:  global
        .offset:         24
        .size:           8
        .value_kind:     global_buffer
      - .actual_access:  read_only
        .address_space:  global
        .offset:         32
        .size:           8
        .value_kind:     global_buffer
      - .offset:         40
        .size:           8
        .value_kind:     by_value
      - .address_space:  global
        .offset:         48
        .size:           8
        .value_kind:     global_buffer
      - .address_space:  global
        .offset:         56
        .size:           8
        .value_kind:     global_buffer
      - .address_space:  global
        .offset:         64
        .size:           8
        .value_kind:     global_buffer
      - .address_space:  global
        .offset:         72
        .size:           8
        .value_kind:     global_buffer
      - .offset:         80
        .size:           4
        .value_kind:     by_value
      - .address_space:  global
        .offset:         88
        .size:           8
        .value_kind:     global_buffer
      - .address_space:  global
        .offset:         96
        .size:           8
        .value_kind:     global_buffer
    .group_segment_fixed_size: 5376
    .kernarg_segment_align: 8
    .kernarg_segment_size: 104
    .language:       OpenCL C
    .language_version:
      - 2
      - 0
    .max_flat_workgroup_size: 56
    .name:           bluestein_single_fwd_len672_dim1_sp_op_CI_CI
    .private_segment_fixed_size: 0
    .sgpr_count:     32
    .sgpr_spill_count: 0
    .symbol:         bluestein_single_fwd_len672_dim1_sp_op_CI_CI.kd
    .uniform_work_group_size: 1
    .uses_dynamic_stack: false
    .vgpr_count:     211
    .vgpr_spill_count: 0
    .wavefront_size: 64
amdhsa.target:   amdgcn-amd-amdhsa--gfx950
amdhsa.version:
  - 1
  - 2
...

	.end_amdgpu_metadata
